;; amdgpu-corpus repo=ROCm/composable_kernel kind=compiled arch=gfx1201 opt=O3
	.amdgcn_target "amdgcn-amd-amdhsa--gfx1201"
	.amdhsa_code_object_version 6
	.section	.text._ZN2ckL12flush_icacheEv,"axG",@progbits,_ZN2ckL12flush_icacheEv,comdat
	.globl	_ZN2ckL12flush_icacheEv         ; -- Begin function _ZN2ckL12flush_icacheEv
	.p2align	8
	.type	_ZN2ckL12flush_icacheEv,@function
_ZN2ckL12flush_icacheEv:                ; @_ZN2ckL12flush_icacheEv
; %bb.0:
	;;#ASMSTART
	s_icache_inv 
	s_nop 0 
	s_nop 0 
	;; [unrolled: 1-line block ×16, first 2 shown]
	
	;;#ASMEND
	s_endpgm
	.section	.rodata,"a",@progbits
	.p2align	6, 0x0
	.amdhsa_kernel _ZN2ckL12flush_icacheEv
		.amdhsa_group_segment_fixed_size 0
		.amdhsa_private_segment_fixed_size 0
		.amdhsa_kernarg_size 0
		.amdhsa_user_sgpr_count 0
		.amdhsa_user_sgpr_dispatch_ptr 0
		.amdhsa_user_sgpr_queue_ptr 0
		.amdhsa_user_sgpr_kernarg_segment_ptr 0
		.amdhsa_user_sgpr_dispatch_id 0
		.amdhsa_user_sgpr_private_segment_size 0
		.amdhsa_wavefront_size32 1
		.amdhsa_uses_dynamic_stack 0
		.amdhsa_enable_private_segment 0
		.amdhsa_system_sgpr_workgroup_id_x 1
		.amdhsa_system_sgpr_workgroup_id_y 0
		.amdhsa_system_sgpr_workgroup_id_z 0
		.amdhsa_system_sgpr_workgroup_info 0
		.amdhsa_system_vgpr_workitem_id 0
		.amdhsa_next_free_vgpr 1
		.amdhsa_next_free_sgpr 1
		.amdhsa_reserve_vcc 0
		.amdhsa_float_round_mode_32 0
		.amdhsa_float_round_mode_16_64 0
		.amdhsa_float_denorm_mode_32 3
		.amdhsa_float_denorm_mode_16_64 3
		.amdhsa_fp16_overflow 0
		.amdhsa_workgroup_processor_mode 1
		.amdhsa_memory_ordered 1
		.amdhsa_forward_progress 1
		.amdhsa_inst_pref_size 1
		.amdhsa_round_robin_scheduling 0
		.amdhsa_exception_fp_ieee_invalid_op 0
		.amdhsa_exception_fp_denorm_src 0
		.amdhsa_exception_fp_ieee_div_zero 0
		.amdhsa_exception_fp_ieee_overflow 0
		.amdhsa_exception_fp_ieee_underflow 0
		.amdhsa_exception_fp_ieee_inexact 0
		.amdhsa_exception_int_div_zero 0
	.end_amdhsa_kernel
	.section	.text._ZN2ckL12flush_icacheEv,"axG",@progbits,_ZN2ckL12flush_icacheEv,comdat
.Lfunc_end0:
	.size	_ZN2ckL12flush_icacheEv, .Lfunc_end0-_ZN2ckL12flush_icacheEv
                                        ; -- End function
	.set _ZN2ckL12flush_icacheEv.num_vgpr, 0
	.set _ZN2ckL12flush_icacheEv.num_agpr, 0
	.set _ZN2ckL12flush_icacheEv.numbered_sgpr, 0
	.set _ZN2ckL12flush_icacheEv.num_named_barrier, 0
	.set _ZN2ckL12flush_icacheEv.private_seg_size, 0
	.set _ZN2ckL12flush_icacheEv.uses_vcc, 0
	.set _ZN2ckL12flush_icacheEv.uses_flat_scratch, 0
	.set _ZN2ckL12flush_icacheEv.has_dyn_sized_stack, 0
	.set _ZN2ckL12flush_icacheEv.has_recursion, 0
	.set _ZN2ckL12flush_icacheEv.has_indirect_call, 0
	.section	.AMDGPU.csdata,"",@progbits
; Kernel info:
; codeLenInByte = 4
; TotalNumSgprs: 0
; NumVgprs: 0
; ScratchSize: 0
; MemoryBound: 0
; FloatMode: 240
; IeeeMode: 1
; LDSByteSize: 0 bytes/workgroup (compile time only)
; SGPRBlocks: 0
; VGPRBlocks: 0
; NumSGPRsForWavesPerEU: 1
; NumVGPRsForWavesPerEU: 1
; Occupancy: 16
; WaveLimiterHint : 0
; COMPUTE_PGM_RSRC2:SCRATCH_EN: 0
; COMPUTE_PGM_RSRC2:USER_SGPR: 0
; COMPUTE_PGM_RSRC2:TRAP_HANDLER: 0
; COMPUTE_PGM_RSRC2:TGID_X_EN: 1
; COMPUTE_PGM_RSRC2:TGID_Y_EN: 0
; COMPUTE_PGM_RSRC2:TGID_Z_EN: 0
; COMPUTE_PGM_RSRC2:TIDIG_COMP_CNT: 0
	.section	.text._ZN2ck16tensor_operation6device12_GLOBAL__N_137kernel_grouped_conv_fwd_dl_multiple_dINS_32GridwiseGemmDlMultipleD_km_kn_mnILi256EaiNS_5TupleIJaEEEaNS0_12element_wise11PassThroughES8_NS7_7AddReluELNS_25InMemoryDataOperationEnumE0ENS_16TensorDescriptorINS5_IJNS_5EmbedINS5_IJiiiEEESD_Lb0EEENS_11PassThroughIiEENS_3PadIiiiLb0EEESG_SG_NSC_INS5_IJiiEEESJ_Lb0EEESG_NS_23Merge_v2_magic_divisionISJ_EESM_NS_8RightPadIiiLb0EEESO_NS_7UnMergeISJ_Lb0EEESG_EEENS5_IJNS_8SequenceIJLi0EEEENSS_IJLi1EEEENSS_IJLi2EEEENSS_IJLi3EEEENSS_IJLi4EEEENSS_IJLi5EEEENSS_IJLi6EEEENSS_IJLi7ELi9EEEENSS_IJLi8ELi10EEEENSS_IJLi11EEEENSS_IJLi12EEEENSS_IJLi14EEEENSS_IJLi13EEEEEEENS5_IJNSS_IJLi1ELi2ELi3EEEESX_SY_SZ_NSS_IJLi7EEEENSS_IJLi8ELi9EEEENSS_IJLi10EEEES12_S13_S15_S14_NSS_IJLi15ELi16EEEENSS_IJLi17EEEEEEENSS_IJLi15ELi17ELi16EEEElEENSB_INS5_IJSQ_SO_SO_SQ_SG_EEENS5_IJST_SU_SV_SX_SW_EEENS5_IJNSS_IJLi1ELi2EEEESW_SX_NSS_IJLi5ELi6EEEES18_EEENSS_IJLi5ELi7ELi6EEEElEENSB_INS5_IJSK_SO_SO_EEENS5_IJST_SU_SV_EEENS5_IJS1I_SW_SX_EEENSS_IJLi3ELi4EEEElEELi128ELi128ELi16ELi4ELi4ELi4ELi1ENSS_IJLi8ELi2EEEES1S_NSS_IJLi8ELi1ELi1ELi4EEEENSS_IJLi2ELi1ELi128ELi1EEEENSS_IJLi1ELi2ELi0ELi3EEEES1V_NSS_IJLi4ELi1ELi1ELi4EEEES1V_NSS_IJLi1ELi1ELi1ELi4EEEES1T_S1U_S1V_S1V_S1W_S1V_S1X_NSS_IJLi0ELi1ELi2ELi3ELi4ELi5EEEELi5ELi4EEEaNS5_IJPKaEEEaS8_S8_S9_NSB_INS5_IJSE_SG_SI_SG_SG_SK_SG_SM_SM_SO_SO_SQ_SG_SG_NSP_INS5_IJiNS_17integral_constantIiLi128EEEEEELb0EEENSF_INS23_IiLi4EEEEEEEENS5_IJST_SU_SV_SW_SX_SY_SZ_S10_S11_S12_S13_S14_S15_NSS_IJLi15EEEES1C_NSS_IJLi16EEEEEEENS5_IJS17_SX_SY_SZ_S18_S19_S1A_S12_S13_S15_S14_S1B_S1C_NSS_IJLi18EEEENSS_IJLi19ELi20EEEENSS_IJLi21EEEEEEENSS_IJLi18ELi19ELi20ELi21EEEElEENSB_INS5_IJSQ_SO_SO_SQ_SG_SG_S26_S28_EEENS5_IJST_SU_SV_SX_SW_SY_S18_SZ_EEENS5_IJS1I_SW_SX_S1J_S18_NSS_IJLi8EEEENSS_IJLi9ELi10EEEES12_EEENSS_IJLi8ELi9ELi10ELi11EEEElEENS5_IJNSB_INS5_IJSK_SO_SO_NSP_INS5_IJiNS23_IiLi2EEENS23_IiLi64EEEEEELb0EEES2T_EEENS5_IJST_SU_SV_SW_SX_EEENS5_IJS1I_SW_SX_NSS_IJLi5ELi6ELi7EEEENSS_IJLi8ELi9ELi10EEEEEEENSS_IJLi5ELi6ELi7ELi8ELi9ELi10EEEElEEEEES30_NS_31BlockToCTileMap_M00_N00_M01_N01ILi128ELi128ES1R_Lb0EEENS1_30ComputePtrOffsetOfStridedBatchILi1ELi1ELi1EvEELb1ELb1EEEvPKT0_S38_T1_PT2_T3_T4_T5_iT6_T7_T8_T9_T10_T11_,"axG",@progbits,_ZN2ck16tensor_operation6device12_GLOBAL__N_137kernel_grouped_conv_fwd_dl_multiple_dINS_32GridwiseGemmDlMultipleD_km_kn_mnILi256EaiNS_5TupleIJaEEEaNS0_12element_wise11PassThroughES8_NS7_7AddReluELNS_25InMemoryDataOperationEnumE0ENS_16TensorDescriptorINS5_IJNS_5EmbedINS5_IJiiiEEESD_Lb0EEENS_11PassThroughIiEENS_3PadIiiiLb0EEESG_SG_NSC_INS5_IJiiEEESJ_Lb0EEESG_NS_23Merge_v2_magic_divisionISJ_EESM_NS_8RightPadIiiLb0EEESO_NS_7UnMergeISJ_Lb0EEESG_EEENS5_IJNS_8SequenceIJLi0EEEENSS_IJLi1EEEENSS_IJLi2EEEENSS_IJLi3EEEENSS_IJLi4EEEENSS_IJLi5EEEENSS_IJLi6EEEENSS_IJLi7ELi9EEEENSS_IJLi8ELi10EEEENSS_IJLi11EEEENSS_IJLi12EEEENSS_IJLi14EEEENSS_IJLi13EEEEEEENS5_IJNSS_IJLi1ELi2ELi3EEEESX_SY_SZ_NSS_IJLi7EEEENSS_IJLi8ELi9EEEENSS_IJLi10EEEES12_S13_S15_S14_NSS_IJLi15ELi16EEEENSS_IJLi17EEEEEEENSS_IJLi15ELi17ELi16EEEElEENSB_INS5_IJSQ_SO_SO_SQ_SG_EEENS5_IJST_SU_SV_SX_SW_EEENS5_IJNSS_IJLi1ELi2EEEESW_SX_NSS_IJLi5ELi6EEEES18_EEENSS_IJLi5ELi7ELi6EEEElEENSB_INS5_IJSK_SO_SO_EEENS5_IJST_SU_SV_EEENS5_IJS1I_SW_SX_EEENSS_IJLi3ELi4EEEElEELi128ELi128ELi16ELi4ELi4ELi4ELi1ENSS_IJLi8ELi2EEEES1S_NSS_IJLi8ELi1ELi1ELi4EEEENSS_IJLi2ELi1ELi128ELi1EEEENSS_IJLi1ELi2ELi0ELi3EEEES1V_NSS_IJLi4ELi1ELi1ELi4EEEES1V_NSS_IJLi1ELi1ELi1ELi4EEEES1T_S1U_S1V_S1V_S1W_S1V_S1X_NSS_IJLi0ELi1ELi2ELi3ELi4ELi5EEEELi5ELi4EEEaNS5_IJPKaEEEaS8_S8_S9_NSB_INS5_IJSE_SG_SI_SG_SG_SK_SG_SM_SM_SO_SO_SQ_SG_SG_NSP_INS5_IJiNS_17integral_constantIiLi128EEEEEELb0EEENSF_INS23_IiLi4EEEEEEEENS5_IJST_SU_SV_SW_SX_SY_SZ_S10_S11_S12_S13_S14_S15_NSS_IJLi15EEEES1C_NSS_IJLi16EEEEEEENS5_IJS17_SX_SY_SZ_S18_S19_S1A_S12_S13_S15_S14_S1B_S1C_NSS_IJLi18EEEENSS_IJLi19ELi20EEEENSS_IJLi21EEEEEEENSS_IJLi18ELi19ELi20ELi21EEEElEENSB_INS5_IJSQ_SO_SO_SQ_SG_SG_S26_S28_EEENS5_IJST_SU_SV_SX_SW_SY_S18_SZ_EEENS5_IJS1I_SW_SX_S1J_S18_NSS_IJLi8EEEENSS_IJLi9ELi10EEEES12_EEENSS_IJLi8ELi9ELi10ELi11EEEElEENS5_IJNSB_INS5_IJSK_SO_SO_NSP_INS5_IJiNS23_IiLi2EEENS23_IiLi64EEEEEELb0EEES2T_EEENS5_IJST_SU_SV_SW_SX_EEENS5_IJS1I_SW_SX_NSS_IJLi5ELi6ELi7EEEENSS_IJLi8ELi9ELi10EEEEEEENSS_IJLi5ELi6ELi7ELi8ELi9ELi10EEEElEEEEES30_NS_31BlockToCTileMap_M00_N00_M01_N01ILi128ELi128ES1R_Lb0EEENS1_30ComputePtrOffsetOfStridedBatchILi1ELi1ELi1EvEELb1ELb1EEEvPKT0_S38_T1_PT2_T3_T4_T5_iT6_T7_T8_T9_T10_T11_,comdat
	.globl	_ZN2ck16tensor_operation6device12_GLOBAL__N_137kernel_grouped_conv_fwd_dl_multiple_dINS_32GridwiseGemmDlMultipleD_km_kn_mnILi256EaiNS_5TupleIJaEEEaNS0_12element_wise11PassThroughES8_NS7_7AddReluELNS_25InMemoryDataOperationEnumE0ENS_16TensorDescriptorINS5_IJNS_5EmbedINS5_IJiiiEEESD_Lb0EEENS_11PassThroughIiEENS_3PadIiiiLb0EEESG_SG_NSC_INS5_IJiiEEESJ_Lb0EEESG_NS_23Merge_v2_magic_divisionISJ_EESM_NS_8RightPadIiiLb0EEESO_NS_7UnMergeISJ_Lb0EEESG_EEENS5_IJNS_8SequenceIJLi0EEEENSS_IJLi1EEEENSS_IJLi2EEEENSS_IJLi3EEEENSS_IJLi4EEEENSS_IJLi5EEEENSS_IJLi6EEEENSS_IJLi7ELi9EEEENSS_IJLi8ELi10EEEENSS_IJLi11EEEENSS_IJLi12EEEENSS_IJLi14EEEENSS_IJLi13EEEEEEENS5_IJNSS_IJLi1ELi2ELi3EEEESX_SY_SZ_NSS_IJLi7EEEENSS_IJLi8ELi9EEEENSS_IJLi10EEEES12_S13_S15_S14_NSS_IJLi15ELi16EEEENSS_IJLi17EEEEEEENSS_IJLi15ELi17ELi16EEEElEENSB_INS5_IJSQ_SO_SO_SQ_SG_EEENS5_IJST_SU_SV_SX_SW_EEENS5_IJNSS_IJLi1ELi2EEEESW_SX_NSS_IJLi5ELi6EEEES18_EEENSS_IJLi5ELi7ELi6EEEElEENSB_INS5_IJSK_SO_SO_EEENS5_IJST_SU_SV_EEENS5_IJS1I_SW_SX_EEENSS_IJLi3ELi4EEEElEELi128ELi128ELi16ELi4ELi4ELi4ELi1ENSS_IJLi8ELi2EEEES1S_NSS_IJLi8ELi1ELi1ELi4EEEENSS_IJLi2ELi1ELi128ELi1EEEENSS_IJLi1ELi2ELi0ELi3EEEES1V_NSS_IJLi4ELi1ELi1ELi4EEEES1V_NSS_IJLi1ELi1ELi1ELi4EEEES1T_S1U_S1V_S1V_S1W_S1V_S1X_NSS_IJLi0ELi1ELi2ELi3ELi4ELi5EEEELi5ELi4EEEaNS5_IJPKaEEEaS8_S8_S9_NSB_INS5_IJSE_SG_SI_SG_SG_SK_SG_SM_SM_SO_SO_SQ_SG_SG_NSP_INS5_IJiNS_17integral_constantIiLi128EEEEEELb0EEENSF_INS23_IiLi4EEEEEEEENS5_IJST_SU_SV_SW_SX_SY_SZ_S10_S11_S12_S13_S14_S15_NSS_IJLi15EEEES1C_NSS_IJLi16EEEEEEENS5_IJS17_SX_SY_SZ_S18_S19_S1A_S12_S13_S15_S14_S1B_S1C_NSS_IJLi18EEEENSS_IJLi19ELi20EEEENSS_IJLi21EEEEEEENSS_IJLi18ELi19ELi20ELi21EEEElEENSB_INS5_IJSQ_SO_SO_SQ_SG_SG_S26_S28_EEENS5_IJST_SU_SV_SX_SW_SY_S18_SZ_EEENS5_IJS1I_SW_SX_S1J_S18_NSS_IJLi8EEEENSS_IJLi9ELi10EEEES12_EEENSS_IJLi8ELi9ELi10ELi11EEEElEENS5_IJNSB_INS5_IJSK_SO_SO_NSP_INS5_IJiNS23_IiLi2EEENS23_IiLi64EEEEEELb0EEES2T_EEENS5_IJST_SU_SV_SW_SX_EEENS5_IJS1I_SW_SX_NSS_IJLi5ELi6ELi7EEEENSS_IJLi8ELi9ELi10EEEEEEENSS_IJLi5ELi6ELi7ELi8ELi9ELi10EEEElEEEEES30_NS_31BlockToCTileMap_M00_N00_M01_N01ILi128ELi128ES1R_Lb0EEENS1_30ComputePtrOffsetOfStridedBatchILi1ELi1ELi1EvEELb1ELb1EEEvPKT0_S38_T1_PT2_T3_T4_T5_iT6_T7_T8_T9_T10_T11_ ; -- Begin function _ZN2ck16tensor_operation6device12_GLOBAL__N_137kernel_grouped_conv_fwd_dl_multiple_dINS_32GridwiseGemmDlMultipleD_km_kn_mnILi256EaiNS_5TupleIJaEEEaNS0_12element_wise11PassThroughES8_NS7_7AddReluELNS_25InMemoryDataOperationEnumE0ENS_16TensorDescriptorINS5_IJNS_5EmbedINS5_IJiiiEEESD_Lb0EEENS_11PassThroughIiEENS_3PadIiiiLb0EEESG_SG_NSC_INS5_IJiiEEESJ_Lb0EEESG_NS_23Merge_v2_magic_divisionISJ_EESM_NS_8RightPadIiiLb0EEESO_NS_7UnMergeISJ_Lb0EEESG_EEENS5_IJNS_8SequenceIJLi0EEEENSS_IJLi1EEEENSS_IJLi2EEEENSS_IJLi3EEEENSS_IJLi4EEEENSS_IJLi5EEEENSS_IJLi6EEEENSS_IJLi7ELi9EEEENSS_IJLi8ELi10EEEENSS_IJLi11EEEENSS_IJLi12EEEENSS_IJLi14EEEENSS_IJLi13EEEEEEENS5_IJNSS_IJLi1ELi2ELi3EEEESX_SY_SZ_NSS_IJLi7EEEENSS_IJLi8ELi9EEEENSS_IJLi10EEEES12_S13_S15_S14_NSS_IJLi15ELi16EEEENSS_IJLi17EEEEEEENSS_IJLi15ELi17ELi16EEEElEENSB_INS5_IJSQ_SO_SO_SQ_SG_EEENS5_IJST_SU_SV_SX_SW_EEENS5_IJNSS_IJLi1ELi2EEEESW_SX_NSS_IJLi5ELi6EEEES18_EEENSS_IJLi5ELi7ELi6EEEElEENSB_INS5_IJSK_SO_SO_EEENS5_IJST_SU_SV_EEENS5_IJS1I_SW_SX_EEENSS_IJLi3ELi4EEEElEELi128ELi128ELi16ELi4ELi4ELi4ELi1ENSS_IJLi8ELi2EEEES1S_NSS_IJLi8ELi1ELi1ELi4EEEENSS_IJLi2ELi1ELi128ELi1EEEENSS_IJLi1ELi2ELi0ELi3EEEES1V_NSS_IJLi4ELi1ELi1ELi4EEEES1V_NSS_IJLi1ELi1ELi1ELi4EEEES1T_S1U_S1V_S1V_S1W_S1V_S1X_NSS_IJLi0ELi1ELi2ELi3ELi4ELi5EEEELi5ELi4EEEaNS5_IJPKaEEEaS8_S8_S9_NSB_INS5_IJSE_SG_SI_SG_SG_SK_SG_SM_SM_SO_SO_SQ_SG_SG_NSP_INS5_IJiNS_17integral_constantIiLi128EEEEEELb0EEENSF_INS23_IiLi4EEEEEEEENS5_IJST_SU_SV_SW_SX_SY_SZ_S10_S11_S12_S13_S14_S15_NSS_IJLi15EEEES1C_NSS_IJLi16EEEEEEENS5_IJS17_SX_SY_SZ_S18_S19_S1A_S12_S13_S15_S14_S1B_S1C_NSS_IJLi18EEEENSS_IJLi19ELi20EEEENSS_IJLi21EEEEEEENSS_IJLi18ELi19ELi20ELi21EEEElEENSB_INS5_IJSQ_SO_SO_SQ_SG_SG_S26_S28_EEENS5_IJST_SU_SV_SX_SW_SY_S18_SZ_EEENS5_IJS1I_SW_SX_S1J_S18_NSS_IJLi8EEEENSS_IJLi9ELi10EEEES12_EEENSS_IJLi8ELi9ELi10ELi11EEEElEENS5_IJNSB_INS5_IJSK_SO_SO_NSP_INS5_IJiNS23_IiLi2EEENS23_IiLi64EEEEEELb0EEES2T_EEENS5_IJST_SU_SV_SW_SX_EEENS5_IJS1I_SW_SX_NSS_IJLi5ELi6ELi7EEEENSS_IJLi8ELi9ELi10EEEEEEENSS_IJLi5ELi6ELi7ELi8ELi9ELi10EEEElEEEEES30_NS_31BlockToCTileMap_M00_N00_M01_N01ILi128ELi128ES1R_Lb0EEENS1_30ComputePtrOffsetOfStridedBatchILi1ELi1ELi1EvEELb1ELb1EEEvPKT0_S38_T1_PT2_T3_T4_T5_iT6_T7_T8_T9_T10_T11_
	.p2align	8
	.type	_ZN2ck16tensor_operation6device12_GLOBAL__N_137kernel_grouped_conv_fwd_dl_multiple_dINS_32GridwiseGemmDlMultipleD_km_kn_mnILi256EaiNS_5TupleIJaEEEaNS0_12element_wise11PassThroughES8_NS7_7AddReluELNS_25InMemoryDataOperationEnumE0ENS_16TensorDescriptorINS5_IJNS_5EmbedINS5_IJiiiEEESD_Lb0EEENS_11PassThroughIiEENS_3PadIiiiLb0EEESG_SG_NSC_INS5_IJiiEEESJ_Lb0EEESG_NS_23Merge_v2_magic_divisionISJ_EESM_NS_8RightPadIiiLb0EEESO_NS_7UnMergeISJ_Lb0EEESG_EEENS5_IJNS_8SequenceIJLi0EEEENSS_IJLi1EEEENSS_IJLi2EEEENSS_IJLi3EEEENSS_IJLi4EEEENSS_IJLi5EEEENSS_IJLi6EEEENSS_IJLi7ELi9EEEENSS_IJLi8ELi10EEEENSS_IJLi11EEEENSS_IJLi12EEEENSS_IJLi14EEEENSS_IJLi13EEEEEEENS5_IJNSS_IJLi1ELi2ELi3EEEESX_SY_SZ_NSS_IJLi7EEEENSS_IJLi8ELi9EEEENSS_IJLi10EEEES12_S13_S15_S14_NSS_IJLi15ELi16EEEENSS_IJLi17EEEEEEENSS_IJLi15ELi17ELi16EEEElEENSB_INS5_IJSQ_SO_SO_SQ_SG_EEENS5_IJST_SU_SV_SX_SW_EEENS5_IJNSS_IJLi1ELi2EEEESW_SX_NSS_IJLi5ELi6EEEES18_EEENSS_IJLi5ELi7ELi6EEEElEENSB_INS5_IJSK_SO_SO_EEENS5_IJST_SU_SV_EEENS5_IJS1I_SW_SX_EEENSS_IJLi3ELi4EEEElEELi128ELi128ELi16ELi4ELi4ELi4ELi1ENSS_IJLi8ELi2EEEES1S_NSS_IJLi8ELi1ELi1ELi4EEEENSS_IJLi2ELi1ELi128ELi1EEEENSS_IJLi1ELi2ELi0ELi3EEEES1V_NSS_IJLi4ELi1ELi1ELi4EEEES1V_NSS_IJLi1ELi1ELi1ELi4EEEES1T_S1U_S1V_S1V_S1W_S1V_S1X_NSS_IJLi0ELi1ELi2ELi3ELi4ELi5EEEELi5ELi4EEEaNS5_IJPKaEEEaS8_S8_S9_NSB_INS5_IJSE_SG_SI_SG_SG_SK_SG_SM_SM_SO_SO_SQ_SG_SG_NSP_INS5_IJiNS_17integral_constantIiLi128EEEEEELb0EEENSF_INS23_IiLi4EEEEEEEENS5_IJST_SU_SV_SW_SX_SY_SZ_S10_S11_S12_S13_S14_S15_NSS_IJLi15EEEES1C_NSS_IJLi16EEEEEEENS5_IJS17_SX_SY_SZ_S18_S19_S1A_S12_S13_S15_S14_S1B_S1C_NSS_IJLi18EEEENSS_IJLi19ELi20EEEENSS_IJLi21EEEEEEENSS_IJLi18ELi19ELi20ELi21EEEElEENSB_INS5_IJSQ_SO_SO_SQ_SG_SG_S26_S28_EEENS5_IJST_SU_SV_SX_SW_SY_S18_SZ_EEENS5_IJS1I_SW_SX_S1J_S18_NSS_IJLi8EEEENSS_IJLi9ELi10EEEES12_EEENSS_IJLi8ELi9ELi10ELi11EEEElEENS5_IJNSB_INS5_IJSK_SO_SO_NSP_INS5_IJiNS23_IiLi2EEENS23_IiLi64EEEEEELb0EEES2T_EEENS5_IJST_SU_SV_SW_SX_EEENS5_IJS1I_SW_SX_NSS_IJLi5ELi6ELi7EEEENSS_IJLi8ELi9ELi10EEEEEEENSS_IJLi5ELi6ELi7ELi8ELi9ELi10EEEElEEEEES30_NS_31BlockToCTileMap_M00_N00_M01_N01ILi128ELi128ES1R_Lb0EEENS1_30ComputePtrOffsetOfStridedBatchILi1ELi1ELi1EvEELb1ELb1EEEvPKT0_S38_T1_PT2_T3_T4_T5_iT6_T7_T8_T9_T10_T11_,@function
_ZN2ck16tensor_operation6device12_GLOBAL__N_137kernel_grouped_conv_fwd_dl_multiple_dINS_32GridwiseGemmDlMultipleD_km_kn_mnILi256EaiNS_5TupleIJaEEEaNS0_12element_wise11PassThroughES8_NS7_7AddReluELNS_25InMemoryDataOperationEnumE0ENS_16TensorDescriptorINS5_IJNS_5EmbedINS5_IJiiiEEESD_Lb0EEENS_11PassThroughIiEENS_3PadIiiiLb0EEESG_SG_NSC_INS5_IJiiEEESJ_Lb0EEESG_NS_23Merge_v2_magic_divisionISJ_EESM_NS_8RightPadIiiLb0EEESO_NS_7UnMergeISJ_Lb0EEESG_EEENS5_IJNS_8SequenceIJLi0EEEENSS_IJLi1EEEENSS_IJLi2EEEENSS_IJLi3EEEENSS_IJLi4EEEENSS_IJLi5EEEENSS_IJLi6EEEENSS_IJLi7ELi9EEEENSS_IJLi8ELi10EEEENSS_IJLi11EEEENSS_IJLi12EEEENSS_IJLi14EEEENSS_IJLi13EEEEEEENS5_IJNSS_IJLi1ELi2ELi3EEEESX_SY_SZ_NSS_IJLi7EEEENSS_IJLi8ELi9EEEENSS_IJLi10EEEES12_S13_S15_S14_NSS_IJLi15ELi16EEEENSS_IJLi17EEEEEEENSS_IJLi15ELi17ELi16EEEElEENSB_INS5_IJSQ_SO_SO_SQ_SG_EEENS5_IJST_SU_SV_SX_SW_EEENS5_IJNSS_IJLi1ELi2EEEESW_SX_NSS_IJLi5ELi6EEEES18_EEENSS_IJLi5ELi7ELi6EEEElEENSB_INS5_IJSK_SO_SO_EEENS5_IJST_SU_SV_EEENS5_IJS1I_SW_SX_EEENSS_IJLi3ELi4EEEElEELi128ELi128ELi16ELi4ELi4ELi4ELi1ENSS_IJLi8ELi2EEEES1S_NSS_IJLi8ELi1ELi1ELi4EEEENSS_IJLi2ELi1ELi128ELi1EEEENSS_IJLi1ELi2ELi0ELi3EEEES1V_NSS_IJLi4ELi1ELi1ELi4EEEES1V_NSS_IJLi1ELi1ELi1ELi4EEEES1T_S1U_S1V_S1V_S1W_S1V_S1X_NSS_IJLi0ELi1ELi2ELi3ELi4ELi5EEEELi5ELi4EEEaNS5_IJPKaEEEaS8_S8_S9_NSB_INS5_IJSE_SG_SI_SG_SG_SK_SG_SM_SM_SO_SO_SQ_SG_SG_NSP_INS5_IJiNS_17integral_constantIiLi128EEEEEELb0EEENSF_INS23_IiLi4EEEEEEEENS5_IJST_SU_SV_SW_SX_SY_SZ_S10_S11_S12_S13_S14_S15_NSS_IJLi15EEEES1C_NSS_IJLi16EEEEEEENS5_IJS17_SX_SY_SZ_S18_S19_S1A_S12_S13_S15_S14_S1B_S1C_NSS_IJLi18EEEENSS_IJLi19ELi20EEEENSS_IJLi21EEEEEEENSS_IJLi18ELi19ELi20ELi21EEEElEENSB_INS5_IJSQ_SO_SO_SQ_SG_SG_S26_S28_EEENS5_IJST_SU_SV_SX_SW_SY_S18_SZ_EEENS5_IJS1I_SW_SX_S1J_S18_NSS_IJLi8EEEENSS_IJLi9ELi10EEEES12_EEENSS_IJLi8ELi9ELi10ELi11EEEElEENS5_IJNSB_INS5_IJSK_SO_SO_NSP_INS5_IJiNS23_IiLi2EEENS23_IiLi64EEEEEELb0EEES2T_EEENS5_IJST_SU_SV_SW_SX_EEENS5_IJS1I_SW_SX_NSS_IJLi5ELi6ELi7EEEENSS_IJLi8ELi9ELi10EEEEEEENSS_IJLi5ELi6ELi7ELi8ELi9ELi10EEEElEEEEES30_NS_31BlockToCTileMap_M00_N00_M01_N01ILi128ELi128ES1R_Lb0EEENS1_30ComputePtrOffsetOfStridedBatchILi1ELi1ELi1EvEELb1ELb1EEEvPKT0_S38_T1_PT2_T3_T4_T5_iT6_T7_T8_T9_T10_T11_: ; @_ZN2ck16tensor_operation6device12_GLOBAL__N_137kernel_grouped_conv_fwd_dl_multiple_dINS_32GridwiseGemmDlMultipleD_km_kn_mnILi256EaiNS_5TupleIJaEEEaNS0_12element_wise11PassThroughES8_NS7_7AddReluELNS_25InMemoryDataOperationEnumE0ENS_16TensorDescriptorINS5_IJNS_5EmbedINS5_IJiiiEEESD_Lb0EEENS_11PassThroughIiEENS_3PadIiiiLb0EEESG_SG_NSC_INS5_IJiiEEESJ_Lb0EEESG_NS_23Merge_v2_magic_divisionISJ_EESM_NS_8RightPadIiiLb0EEESO_NS_7UnMergeISJ_Lb0EEESG_EEENS5_IJNS_8SequenceIJLi0EEEENSS_IJLi1EEEENSS_IJLi2EEEENSS_IJLi3EEEENSS_IJLi4EEEENSS_IJLi5EEEENSS_IJLi6EEEENSS_IJLi7ELi9EEEENSS_IJLi8ELi10EEEENSS_IJLi11EEEENSS_IJLi12EEEENSS_IJLi14EEEENSS_IJLi13EEEEEEENS5_IJNSS_IJLi1ELi2ELi3EEEESX_SY_SZ_NSS_IJLi7EEEENSS_IJLi8ELi9EEEENSS_IJLi10EEEES12_S13_S15_S14_NSS_IJLi15ELi16EEEENSS_IJLi17EEEEEEENSS_IJLi15ELi17ELi16EEEElEENSB_INS5_IJSQ_SO_SO_SQ_SG_EEENS5_IJST_SU_SV_SX_SW_EEENS5_IJNSS_IJLi1ELi2EEEESW_SX_NSS_IJLi5ELi6EEEES18_EEENSS_IJLi5ELi7ELi6EEEElEENSB_INS5_IJSK_SO_SO_EEENS5_IJST_SU_SV_EEENS5_IJS1I_SW_SX_EEENSS_IJLi3ELi4EEEElEELi128ELi128ELi16ELi4ELi4ELi4ELi1ENSS_IJLi8ELi2EEEES1S_NSS_IJLi8ELi1ELi1ELi4EEEENSS_IJLi2ELi1ELi128ELi1EEEENSS_IJLi1ELi2ELi0ELi3EEEES1V_NSS_IJLi4ELi1ELi1ELi4EEEES1V_NSS_IJLi1ELi1ELi1ELi4EEEES1T_S1U_S1V_S1V_S1W_S1V_S1X_NSS_IJLi0ELi1ELi2ELi3ELi4ELi5EEEELi5ELi4EEEaNS5_IJPKaEEEaS8_S8_S9_NSB_INS5_IJSE_SG_SI_SG_SG_SK_SG_SM_SM_SO_SO_SQ_SG_SG_NSP_INS5_IJiNS_17integral_constantIiLi128EEEEEELb0EEENSF_INS23_IiLi4EEEEEEEENS5_IJST_SU_SV_SW_SX_SY_SZ_S10_S11_S12_S13_S14_S15_NSS_IJLi15EEEES1C_NSS_IJLi16EEEEEEENS5_IJS17_SX_SY_SZ_S18_S19_S1A_S12_S13_S15_S14_S1B_S1C_NSS_IJLi18EEEENSS_IJLi19ELi20EEEENSS_IJLi21EEEEEEENSS_IJLi18ELi19ELi20ELi21EEEElEENSB_INS5_IJSQ_SO_SO_SQ_SG_SG_S26_S28_EEENS5_IJST_SU_SV_SX_SW_SY_S18_SZ_EEENS5_IJS1I_SW_SX_S1J_S18_NSS_IJLi8EEEENSS_IJLi9ELi10EEEES12_EEENSS_IJLi8ELi9ELi10ELi11EEEElEENS5_IJNSB_INS5_IJSK_SO_SO_NSP_INS5_IJiNS23_IiLi2EEENS23_IiLi64EEEEEELb0EEES2T_EEENS5_IJST_SU_SV_SW_SX_EEENS5_IJS1I_SW_SX_NSS_IJLi5ELi6ELi7EEEENSS_IJLi8ELi9ELi10EEEEEEENSS_IJLi5ELi6ELi7ELi8ELi9ELi10EEEElEEEEES30_NS_31BlockToCTileMap_M00_N00_M01_N01ILi128ELi128ES1R_Lb0EEENS1_30ComputePtrOffsetOfStridedBatchILi1ELi1ELi1EvEELb1ELb1EEEvPKT0_S38_T1_PT2_T3_T4_T5_iT6_T7_T8_T9_T10_T11_
; %bb.0:
	s_clause 0x2
	s_load_b32 s2, s[0:1], 0x24
	s_load_b96 s[36:38], s[0:1], 0x34
	s_load_b128 s[12:15], s[0:1], 0x234
	v_lshrrev_b32_e32 v36, 1, v0
	s_mov_b32 s27, 0x31004000
	v_dual_mov_b32 v101, 0 :: v_dual_lshlrev_b32 v38, 1, v0
	v_lshrrev_b32_e32 v37, 5, v0
	v_mov_b32_e32 v103, 0
	v_mov_b32_e32 v77, 0
	v_dual_mov_b32 v19, 0 :: v_dual_mov_b32 v24, 0
	s_delay_alu instid0(VALU_DEP_4)
	v_lshlrev_b32_e32 v39, 6, v37
	v_and_b32_e32 v47, 0x1f8, v38
	v_lshlrev_b32_e32 v37, 3, v37
	v_dual_mov_b32 v25, 0 :: v_dual_mov_b32 v62, 0
	v_dual_mov_b32 v21, 0 :: v_dual_mov_b32 v64, 0
	;; [unrolled: 1-line block ×3, first 2 shown]
	s_wait_kmcnt 0x0
	s_abs_i32 s3, s2
	v_dual_mov_b32 v63, 0 :: v_dual_mov_b32 v68, 0
	s_cvt_f32_u32 s4, s3
	s_sub_co_i32 s6, 0, s3
	v_dual_mov_b32 v65, 0 :: v_dual_mov_b32 v70, 0
	s_delay_alu instid0(SALU_CYCLE_1)
	v_rcp_iflag_f32_e32 v1, s4
	s_load_b32 s4, s[0:1], 0x288
	v_dual_mov_b32 v27, 0 :: v_dual_mov_b32 v72, 0
	v_dual_mov_b32 v33, 0 :: v_dual_mov_b32 v82, 0
	v_dual_mov_b32 v35, 0 :: v_dual_mov_b32 v74, 0
	v_dual_mov_b32 v61, 0 :: v_dual_mov_b32 v76, 0
	s_delay_alu instid0(TRANS32_DEP_1)
	v_readfirstlane_b32 s5, v1
	v_dual_mov_b32 v67, 0 :: v_dual_mov_b32 v80, 0
	v_dual_mov_b32 v69, 0 :: v_dual_mov_b32 v90, 0
	s_mul_f32 s5, s5, 0x4f7ffffe
	v_dual_mov_b32 v71, 0 :: v_dual_mov_b32 v84, 0
	v_dual_mov_b32 v73, 0 :: v_dual_mov_b32 v86, 0
	s_wait_alu 0xfffe
	s_cvt_u32_f32 s5, s5
	s_wait_kmcnt 0x0
	s_abs_i32 s7, s4
	s_xor_b32 s2, s4, s2
	v_dual_mov_b32 v81, 0 :: v_dual_mov_b32 v88, 0
	s_wait_alu 0xfffe
	s_mul_i32 s6, s6, s5
	s_ashr_i32 s2, s2, 31
	s_mul_hi_u32 s6, s5, s6
	v_dual_mov_b32 v83, 0 :: v_dual_mov_b32 v98, 0
	s_add_co_i32 s5, s5, s6
	v_dual_mov_b32 v85, 0 :: v_dual_mov_b32 v100, 0
	s_wait_alu 0xfffe
	s_mul_hi_u32 s5, s7, s5
	v_dual_mov_b32 v75, 0 :: v_dual_mov_b32 v92, 0
	s_wait_alu 0xfffe
	s_mul_i32 s4, s5, s3
	s_add_co_i32 s6, s5, 1
	s_wait_alu 0xfffe
	s_sub_co_i32 s4, s7, s4
	v_dual_mov_b32 v89, 0 :: v_dual_mov_b32 v94, 0
	s_wait_alu 0xfffe
	s_sub_co_i32 s7, s4, s3
	s_cmp_ge_u32 s4, s3
	v_dual_mov_b32 v91, 0 :: v_dual_mov_b32 v96, 0
	s_cselect_b32 s5, s6, s5
	s_cselect_b32 s4, s7, s4
	s_wait_alu 0xfffe
	s_add_co_i32 s6, s5, 1
	s_cmp_ge_u32 s4, s3
	v_dual_mov_b32 v93, 0 :: v_dual_mov_b32 v102, 0
	s_cselect_b32 s3, s6, s5
	s_abs_i32 s10, ttmp9
	s_xor_b32 s3, s3, s2
	v_dual_mov_b32 v87, 0 :: v_dual_mov_b32 v104, 0
	s_sub_co_i32 s3, s3, s2
	v_dual_mov_b32 v97, 0 :: v_dual_mov_b32 v78, 0
	s_abs_i32 s8, s3
	s_xor_b32 s3, ttmp9, s3
	s_cvt_f32_u32 s2, s8
	s_sub_co_i32 s4, 0, s8
	s_ashr_i32 s3, s3, 31
	v_mov_b32_e32 v22, 0
	v_rcp_iflag_f32_e32 v1, s2
	v_dual_mov_b32 v99, 0 :: v_dual_mov_b32 v28, 0
	v_dual_mov_b32 v16, 0 :: v_dual_mov_b32 v95, 0
	v_mov_b32_e32 v30, 0
	s_mov_b32 s59, 0
	s_load_b32 s30, s[0:1], 0x214
	v_dual_mov_b32 v17, 0 :: v_dual_mov_b32 v18, 0
	s_delay_alu instid0(TRANS32_DEP_1)
	v_readfirstlane_b32 s2, v1
	v_lshlrev_b32_e32 v1, 3, v0
	v_lshlrev_b32_e32 v0, 2, v0
	v_mov_b32_e32 v26, 0
	v_mov_b32_e32 v32, 0
	s_mul_f32 s2, s2, 0x4f7ffffe
	v_dual_mov_b32 v34, 0 :: v_dual_and_b32 v15, 8, v1
	v_mov_b32_e32 v20, 0
	s_wait_alu 0xfffe
	s_cvt_u32_f32 s2, s2
	s_delay_alu instid0(VALU_DEP_2)
	v_or_b32_e32 v52, 20, v15
	v_or_b32_e32 v51, 32, v15
	s_wait_alu 0xfffe
	s_mul_i32 s9, s4, s2
	s_load_b128 s[4:7], s[0:1], 0x248
	s_mul_hi_u32 s9, s2, s9
	s_delay_alu instid0(SALU_CYCLE_1) | instskip(SKIP_4) | instid1(SALU_CYCLE_1)
	s_add_co_i32 s9, s2, s9
	s_clause 0x1
	s_load_b32 s57, s[0:1], 0x94
	s_load_b32 s2, s[0:1], 0xc4
	s_mul_hi_u32 s9, s10, s9
	s_mul_i32 s11, s9, s8
	s_delay_alu instid0(SALU_CYCLE_1)
	s_sub_co_i32 s10, s10, s11
	s_add_co_i32 s11, s9, 1
	s_sub_co_i32 s16, s10, s8
	s_cmp_ge_u32 s10, s8
	s_cselect_b32 s9, s11, s9
	s_cselect_b32 s10, s16, s10
	s_add_co_i32 s11, s9, 1
	s_cmp_ge_u32 s10, s8
	s_mul_hi_u32 s8, s15, ttmp9
	s_cselect_b32 s24, s11, s9
	s_add_co_i32 s8, ttmp9, s8
	s_xor_b32 s24, s24, s3
	s_wait_kmcnt 0x0
	s_lshr_b32 s25, s8, s7
	s_load_b128 s[8:11], s[0:1], 0x220
	s_mul_hi_u32 s7, s25, s14
	s_load_b32 s14, s[0:1], 0x204
	s_add_co_i32 s7, s25, s7
	v_mul_lo_u32 v42, s2, v15
	s_lshr_b32 s28, s7, s6
	s_clause 0x5
	s_load_b32 s6, s[0:1], 0x78
	s_load_b32 s29, s[0:1], 0x80
	;; [unrolled: 1-line block ×6, first 2 shown]
	s_mul_hi_u32 s7, s28, s13
	s_clause 0x1
	s_load_b128 s[20:23], s[0:1], 0x0
	s_load_b64 s[46:47], s[0:1], 0x18
	s_add_co_i32 s7, s28, s7
	s_lshl_b32 s58, s2, 2
	s_lshr_b32 s5, s7, s5
	v_mul_hi_u32 v1, v42, s57
	s_wait_alu 0xfffe
	s_mul_hi_u32 s7, s5, s12
	v_add_nc_u32_e32 v44, s58, v42
	s_add_co_i32 s7, s5, s7
	s_sub_co_i32 s50, s24, s3
	s_lshr_b32 s4, s7, s4
	s_ashr_i32 s51, s50, 31
	v_mul_hi_u32 v5, v44, s57
	s_wait_kmcnt 0x0
	s_wait_alu 0xfffe
	s_mul_i32 s4, s4, s8
	s_mul_i32 s7, s28, s10
	s_wait_alu 0xfffe
	s_sub_co_i32 s4, s5, s4
	s_sub_co_i32 s43, s25, s7
	s_load_b32 s8, s[0:1], 0x120
	s_mul_i32 s4, s4, s14
	v_add_nc_u32_e32 v1, v42, v1
	s_wait_alu 0xfffe
	s_add_co_i32 s43, s43, s4
	s_clause 0x3
	s_load_b64 s[48:49], s[0:1], 0x60
	s_load_b32 s52, s[0:1], 0x48
	s_load_b32 s4, s[0:1], 0x70
	s_load_b96 s[40:42], s[0:1], 0x44
	v_lshl_or_b32 v109, s43, 7, v36
	s_mul_i32 s5, s5, s9
	v_lshrrev_b32_e32 v2, s56, v1
	s_mul_i32 s25, s25, s11
	s_wait_alu 0xfffe
	s_sub_co_i32 s5, s28, s5
	v_mul_hi_u32 v3, v109, s6
	s_clause 0x6
	s_load_b32 s26, s[0:1], 0xe8
	s_load_b32 s31, s[0:1], 0xf8
	;; [unrolled: 1-line block ×5, first 2 shown]
	s_load_b64 s[44:45], s[0:1], 0x158
	s_load_b256 s[12:19], s[0:1], 0x260
	v_mul_lo_u32 v1, v2, s55
	s_wait_kmcnt 0x0
	s_sub_co_i32 s41, ttmp9, s25
	s_mul_i32 s5, s5, s30
	s_mov_b32 s7, s27
	s_wait_alu 0xfffe
	s_add_co_i32 s41, s41, s5
	v_cmp_gt_i32_e64 s3, s53, v42
	v_add_nc_u32_e32 v3, v109, v3
	v_lshl_or_b32 v110, s41, 7, v36
	v_sub_nc_u32_e32 v4, v42, v1
	v_mul_lo_u32 v1, v2, s48
	v_mul_lo_u32 v46, s8, v15
	v_lshrrev_b32_e32 v7, s29, v3
	v_add_nc_u32_e32 v3, v44, v5
	v_mul_lo_u32 v6, v4, s38
	v_mul_lo_u32 v41, v110, s31
	v_lshlrev_b32_e32 v36, 2, v36
	v_mul_lo_u32 v5, v7, s4
	v_lshrrev_b32_e32 v43, s56, v3
	v_mul_lo_u32 v7, v7, s36
	s_mul_u64 s[4:5], s[14:15], s[50:51]
	s_mul_u64 s[12:13], s[12:13], s[50:51]
	s_wait_alu 0xfffe
	s_add_nc_u64 s[28:29], s[22:23], s[4:5]
	s_add_nc_u64 s[24:25], s[20:21], s[12:13]
	s_wait_alu 0xfffe
	s_and_b32 s29, s29, 0xffff
	v_sub_nc_u32_e32 v3, v109, v5
	v_mul_lo_u32 v5, v43, s55
	s_mov_b32 s4, s28
	s_wait_alu 0xfffe
	s_mov_b32 s5, s29
	s_and_b32 s25, s25, 0xffff
	v_mad_co_u64_u32 v[13:14], null, v3, s49, v[1:2]
	v_sub_nc_u32_e32 v1, v43, v2
	s_lshl_b32 s49, s8, 2
	v_sub_nc_u32_e32 v45, v44, v5
	v_add_nc_u32_e32 v5, v41, v46
	v_lshl_or_b32 v40, v15, 9, v36
	v_mul_lo_u32 v14, v1, s48
	v_subrev_nc_u32_e32 v8, s52, v13
	v_sub_nc_u32_e32 v9, v45, v4
	buffer_load_b128 v[1:4], v5, s[4:7], null offen
	v_add_nc_u32_e32 v5, s49, v5
	v_sub_nc_u32_e32 v36, v47, v39
	v_mul_lo_u32 v8, v8, s37
	v_mul_lo_u32 v9, v9, s38
	;; [unrolled: 1-line block ×3, first 2 shown]
	v_and_or_b32 v39, v38, 4, v37
	v_or_b32_e32 v37, 36, v15
	v_mul_lo_u32 v49, s8, v52
	v_mul_lo_u32 v52, s2, v52
	v_add_nc_u32_e32 v42, v13, v14
	v_add3_u32 v11, v7, v6, v8
	buffer_load_b128 v[5:8], v5, s[4:7], null offen
	v_mul_lo_u32 v50, s2, v37
	v_or_b32_e32 v15, 16, v15
	v_cmp_gt_i32_e64 s4, s54, v46
	v_add3_u32 v60, v9, v10, v11
	s_clause 0x1
	buffer_load_b128 v[9:12], v11, s[24:27], null offen
	buffer_load_b128 v[105:108], v60, s[24:27], null offen
	s_clause 0x3
	s_load_b32 s33, s[0:1], 0x1b4
	s_load_b32 s36, s[0:1], 0x1c0
	s_load_b64 s[14:15], s[0:1], 0x1e8
	s_load_b32 s5, s[0:1], 0xd0
	s_wait_kmcnt 0x0
	s_clause 0x3
	s_load_b32 s15, s[0:1], 0x164
	s_load_b32 s39, s[0:1], 0x170
	s_load_b64 s[22:23], s[0:1], 0x198
	s_load_b64 s[34:35], s[0:1], 0x1a8
	s_wait_kmcnt 0x0
	s_sub_co_i32 s23, s40, s42
	v_mov_b32_e32 v57, v52
	v_cmp_gt_i32_e64 s7, s23, v13
	v_dual_mov_b32 v55, v50 :: v_dual_add_nc_u32 v46, s49, v46
	v_cmp_gt_i32_e32 vcc_lo, s10, v110
	s_mov_b32 s30, s6
	s_and_b32 s9, s7, s3
	v_cmp_gt_i32_e64 s7, s23, v42
	s_mul_i32 s21, s8, 12
	v_mul_lo_u32 v47, s8, v37
	v_mul_lo_u32 v48, s8, v51
	;; [unrolled: 1-line block ×5, first 2 shown]
	s_lshl_b32 s42, s8, 5
	v_cmp_gt_i32_e64 s6, s54, v46
	v_cmp_le_i32_e64 s8, s52, v13
	s_sub_co_i32 s40, s5, 32
	v_cmp_gt_i32_e64 s5, s53, v44
	v_cmp_le_i32_e64 s3, s52, v42
	s_and_b32 s4, s4, vcc_lo
	s_mul_i32 s60, s2, 12
	s_lshl_b32 s61, s2, 5
	v_cmp_gt_i32_e64 s2, s63, v109
	v_and_or_b32 v38, v0, 4, v36
	v_dual_mov_b32 v79, 0 :: v_dual_lshlrev_b32 v36, 2, v39
	v_dual_mov_b32 v29, 0 :: v_dual_mov_b32 v56, v51
	v_dual_mov_b32 v31, 0 :: v_dual_mov_b32 v58, v53
	s_delay_alu instid0(VALU_DEP_4)
	v_lshlrev_b32_e32 v37, 2, v38
	v_mov_b32_e32 v59, v44
	s_mov_b32 s20, 0
	s_mov_b32 s31, s27
	s_sub_co_i32 s62, 0, s55
	s_wait_loadcnt 0x3
	s_wait_alu 0xfffe
	v_cndmask_b32_e64 v2, 0, v2, s4
	v_cndmask_b32_e64 v1, 0, v1, s4
	;; [unrolled: 1-line block ×4, first 2 shown]
	s_and_b32 s4, s7, s5
	s_and_b32 s5, s9, s8
	s_wait_alu 0xfffe
	s_and_b32 s4, s4, s3
	s_and_b32 s3, s6, vcc_lo
	ds_store_2addr_stride64_b32 v40, v1, v2 offset0:64 offset1:66
	ds_store_2addr_stride64_b32 v40, v3, v0 offset0:68 offset1:70
	s_wait_loadcnt 0x2
	s_wait_alu 0xfffe
	v_cndmask_b32_e64 v0, 0, v8, s3
	v_cndmask_b32_e64 v1, 0, v7, s3
	;; [unrolled: 1-line block ×4, first 2 shown]
	s_and_b32 s3, s2, s5
	s_wait_loadcnt 0x1
	s_wait_alu 0xfffe
	v_cndmask_b32_e64 v4, 0, v12, s3
	v_cndmask_b32_e64 v5, 0, v11, s3
	;; [unrolled: 1-line block ×4, first 2 shown]
	s_and_b32 s3, s2, s4
	s_wait_loadcnt 0x0
	s_wait_alu 0xfffe
	v_cndmask_b32_e64 v9, 0, v106, s3
	v_cndmask_b32_e64 v10, 0, v105, s3
	v_cndmask_b32_e64 v8, 0, v108, s3
	v_cndmask_b32_e64 v11, 0, v107, s3
	ds_store_2addr_stride64_b32 v40, v3, v2 offset0:72 offset1:74
	ds_store_2addr_stride64_b32 v40, v7, v6 offset1:2
	ds_store_2addr_stride64_b32 v40, v5, v4 offset0:4 offset1:6
	ds_store_2addr_stride64_b32 v40, v10, v9 offset0:8 offset1:10
	;; [unrolled: 1-line block ×4, first 2 shown]
.LBB1_1:                                ; =>This Inner Loop Header: Depth=1
	v_mul_hi_u32 v11, s57, v58
	v_add_nc_u32_e32 v10, s20, v53
	v_mul_hi_u32 v12, s57, v57
	v_mul_hi_u32 v13, s57, v56
	v_add_nc_u32_e32 v8, s20, v52
	v_add_nc_u32_e32 v9, s20, v51
	v_mul_hi_u32 v14, s57, v55
	v_cmp_gt_i32_e64 s3, s54, v54
	v_add_nc_u32_e32 v11, v10, v11
	v_cmp_gt_i32_e64 s4, s54, v49
	v_add_nc_u32_e32 v12, v8, v12
	v_add_nc_u32_e32 v13, v9, v13
	;; [unrolled: 1-line block ×3, first 2 shown]
	v_lshrrev_b32_e32 v105, s56, v11
	s_add_co_i32 s7, s58, s60
	v_lshrrev_b32_e32 v108, s56, v12
	v_lshrrev_b32_e32 v13, s56, v13
	s_wait_alu 0xfffe
	v_add3_u32 v59, s7, s7, v59
	v_mul_lo_u32 v109, s62, v105
	v_sub_nc_u32_e32 v110, v105, v43
	v_cmp_gt_i32_e64 s10, s53, v8
	s_and_b32 s7, vcc_lo, s3
	s_and_b32 s3, vcc_lo, s4
	v_cmp_gt_i32_e64 s4, s53, v9
	v_mad_co_u64_u32 v[11:12], null, s62, v108, v[8:9]
	v_mad_co_u64_u32 v[8:9], null, s62, v13, v[9:10]
	v_add_nc_u32_e32 v14, v15, v14
	v_sub_nc_u32_e32 v12, v108, v105
	v_mul_lo_u32 v9, v110, s48
	v_sub_nc_u32_e32 v45, v109, v45
	s_add_co_i32 s8, s49, s21
	v_sub_nc_u32_e32 v105, v13, v108
	s_wait_alu 0xfffe
	v_add3_u32 v46, s8, s8, v46
	v_cmp_gt_i32_e64 s8, s53, v10
	v_lshrrev_b32_e32 v43, s56, v14
	v_mul_lo_u32 v12, v12, s48
	v_add_nc_u32_e32 v109, v10, v109
	v_add_nc_u32_e32 v10, v10, v45
	;; [unrolled: 1-line block ×3, first 2 shown]
	v_mul_lo_u32 v14, v105, s48
	v_mul_lo_u32 v105, s62, v43
	v_sub_nc_u32_e32 v110, v8, v11
	v_mul_lo_u32 v9, v9, s37
	v_sub_nc_u32_e32 v11, v11, v109
	v_mul_lo_u32 v10, v10, s38
	v_mul_lo_u32 v111, v12, s37
	v_cmp_gt_i32_e64 s12, s23, v42
	v_add_nc_u32_e32 v12, v12, v42
	v_sub_nc_u32_e32 v13, v43, v13
	v_mul_lo_u32 v112, v11, s38
	v_cmp_gt_i32_e64 s9, s53, v15
	v_add_nc_u32_e32 v15, v15, v105
	s_and_b32 s13, s12, s8
	v_cmp_le_i32_e64 s8, s52, v12
	v_cmp_gt_i32_e64 s12, s23, v12
	v_add_nc_u32_e32 v11, v14, v12
	v_add3_u32 v12, v9, v60, v10
	v_mul_lo_u32 v108, v43, s55
	v_mul_lo_u32 v13, v13, s48
	v_add_nc_u32_e32 v0, v41, v54
	v_cmp_le_i32_e64 s11, s52, v42
	v_sub_nc_u32_e32 v8, v15, v8
	v_add3_u32 v60, v12, v111, v112
	v_add_nc_u32_e32 v1, v41, v49
	v_mul_lo_u32 v183, v14, s37
	v_mul_lo_u32 v110, v110, s38
	s_clause 0x1
	buffer_load_b128 v[4:7], v0, s[28:31], null offen
	buffer_load_b128 v[0:3], v1, s[28:31], null offen
	v_sub_nc_u32_e32 v45, v59, v108
	v_mul_lo_u32 v108, v13, s37
	v_mul_lo_u32 v109, v8, s38
	s_and_b32 s13, s13, s11
	s_and_b32 s11, s12, s10
	v_cmp_le_i32_e64 s12, s52, v11
	v_cmp_gt_i32_e64 s10, s23, v11
	v_add_nc_u32_e32 v42, v13, v11
	s_clause 0x1
	buffer_load_b128 v[8:11], v12, s[24:27], null offen
	buffer_load_b128 v[12:15], v60, s[24:27], null offen
	s_wait_dscnt 0x0
	s_barrier_signal -1
	s_barrier_wait -1
	ds_load_b128 v[111:114], v36
	ds_load_b128 v[115:118], v37 offset:16384
	ds_load_b128 v[119:122], v37 offset:16640
	;; [unrolled: 1-line block ×17, first 2 shown]
	v_add3_u32 v110, v110, v183, v60
	ds_load_b128 v[183:186], v36 offset:2048
	ds_load_b128 v[187:190], v36 offset:2304
	v_add_nc_u32_e32 v106, v41, v48
	s_wait_dscnt 0x12
	v_dot4_i32_iu8 v60, v111, v115, v104 neg_lo:[1,1,0]
	v_dot4_i32_iu8 v103, v111, v116, v103 neg_lo:[1,1,0]
	;; [unrolled: 1-line block ×16, first 2 shown]
	s_wait_dscnt 0x11
	v_dot4_i32_iu8 v96, v111, v119, v96 neg_lo:[1,1,0]
	v_dot4_i32_iu8 v95, v111, v120, v95 neg_lo:[1,1,0]
	v_dot4_i32_iu8 v94, v111, v121, v94 neg_lo:[1,1,0]
	v_dot4_i32_iu8 v92, v111, v122, v92 neg_lo:[1,1,0]
	v_dot4_i32_iu8 v88, v112, v119, v88 neg_lo:[1,1,0]
	v_dot4_i32_iu8 v87, v112, v120, v87 neg_lo:[1,1,0]
	v_dot4_i32_iu8 v86, v112, v121, v86 neg_lo:[1,1,0]
	v_dot4_i32_iu8 v84, v112, v122, v84 neg_lo:[1,1,0]
	v_dot4_i32_iu8 v80, v113, v119, v80 neg_lo:[1,1,0]
	v_dot4_i32_iu8 v76, v113, v120, v76 neg_lo:[1,1,0]
	v_dot4_i32_iu8 v75, v113, v121, v75 neg_lo:[1,1,0]
	v_dot4_i32_iu8 v74, v113, v122, v74 neg_lo:[1,1,0]
	v_dot4_i32_iu8 v104, v114, v119, v73 neg_lo:[1,1,0]
	v_dot4_i32_iu8 v111, v114, v120, v72 neg_lo:[1,1,0]
	v_dot4_i32_iu8 v112, v114, v121, v71 neg_lo:[1,1,0]
	v_dot4_i32_iu8 v113, v114, v122, v70 neg_lo:[1,1,0]
	ds_load_b128 v[70:73], v37 offset:18944
	s_wait_dscnt 0x11
	v_dot4_i32_iu8 v69, v123, v115, v69 neg_lo:[1,1,0]
	v_dot4_i32_iu8 v68, v123, v116, v68 neg_lo:[1,1,0]
	;; [unrolled: 1-line block ×16, first 2 shown]
	ds_load_b128 v[62:65], v37 offset:19200
	v_dot4_i32_iu8 v61, v123, v119, v61 neg_lo:[1,1,0]
	v_dot4_i32_iu8 v35, v123, v120, v35 neg_lo:[1,1,0]
	;; [unrolled: 1-line block ×16, first 2 shown]
	s_wait_dscnt 0xf
	v_dot4_i32_iu8 v60, v135, v127, v60 neg_lo:[1,1,0]
	v_dot4_i32_iu8 v103, v135, v128, v103 neg_lo:[1,1,0]
	;; [unrolled: 1-line block ×32, first 2 shown]
	ds_load_b128 v[16:19], v36 offset:2560
	ds_load_b128 v[20:23], v36 offset:2816
	;; [unrolled: 1-line block ×4, first 2 shown]
	s_wait_dscnt 0x12
	v_dot4_i32_iu8 v126, v139, v127, v69 neg_lo:[1,1,0]
	v_dot4_i32_iu8 v135, v139, v128, v68 neg_lo:[1,1,0]
	;; [unrolled: 1-line block ×32, first 2 shown]
	s_wait_dscnt 0xf
	v_dot4_i32_iu8 v60, v151, v143, v60 neg_lo:[1,1,0]
	v_dot4_i32_iu8 v103, v151, v144, v103 neg_lo:[1,1,0]
	;; [unrolled: 1-line block ×32, first 2 shown]
	ds_load_b128 v[32:35], v36 offset:3072
	ds_load_b128 v[66:69], v36 offset:3328
	;; [unrolled: 1-line block ×3, first 2 shown]
	s_wait_dscnt 0x11
	v_dot4_i32_iu8 v126, v155, v143, v126 neg_lo:[1,1,0]
	v_dot4_i32_iu8 v135, v155, v144, v135 neg_lo:[1,1,0]
	;; [unrolled: 1-line block ×16, first 2 shown]
	ds_load_b128 v[78:81], v37 offset:20224
	v_dot4_i32_iu8 v61, v155, v147, v61 neg_lo:[1,1,0]
	v_dot4_i32_iu8 v128, v155, v148, v128 neg_lo:[1,1,0]
	;; [unrolled: 1-line block ×16, first 2 shown]
	s_wait_dscnt 0xf
	v_dot4_i32_iu8 v60, v167, v159, v60 neg_lo:[1,1,0]
	v_dot4_i32_iu8 v103, v167, v160, v103 neg_lo:[1,1,0]
	v_dot4_i32_iu8 v102, v167, v161, v102 neg_lo:[1,1,0]
	v_dot4_i32_iu8 v145, v167, v162, v101 neg_lo:[1,1,0]
	v_dot4_i32_iu8 v146, v168, v159, v100 neg_lo:[1,1,0]
	v_dot4_i32_iu8 v147, v168, v160, v99 neg_lo:[1,1,0]
	v_dot4_i32_iu8 v148, v168, v161, v98 neg_lo:[1,1,0]
	v_dot4_i32_iu8 v149, v168, v162, v97 neg_lo:[1,1,0]
	v_dot4_i32_iu8 v150, v169, v159, v93 neg_lo:[1,1,0]
	v_dot4_i32_iu8 v155, v169, v160, v91 neg_lo:[1,1,0]
	v_dot4_i32_iu8 v156, v169, v161, v90 neg_lo:[1,1,0]
	v_dot4_i32_iu8 v131, v169, v162, v131 neg_lo:[1,1,0]
	v_dot4_i32_iu8 v132, v170, v159, v132 neg_lo:[1,1,0]
	v_dot4_i32_iu8 v133, v170, v160, v133 neg_lo:[1,1,0]
	v_dot4_i32_iu8 v134, v170, v161, v134 neg_lo:[1,1,0]
	v_dot4_i32_iu8 v141, v170, v162, v141 neg_lo:[1,1,0]
	v_dot4_i32_iu8 v157, v167, v163, v96 neg_lo:[1,1,0]
	v_dot4_i32_iu8 v158, v167, v164, v95 neg_lo:[1,1,0]
	v_dot4_i32_iu8 v199, v167, v165, v94 neg_lo:[1,1,0]
	v_dot4_i32_iu8 v167, v167, v166, v92 neg_lo:[1,1,0]
	v_dot4_i32_iu8 v142, v168, v163, v142 neg_lo:[1,1,0]
	v_dot4_i32_iu8 v151, v168, v164, v151 neg_lo:[1,1,0]
	v_dot4_i32_iu8 v196, v168, v165, v196 neg_lo:[1,1,0]
	v_dot4_i32_iu8 v152, v168, v166, v152 neg_lo:[1,1,0]
	v_dot4_i32_iu8 v168, v169, v163, v197 neg_lo:[1,1,0]
	v_dot4_i32_iu8 v197, v169, v164, v198 neg_lo:[1,1,0]
	v_dot4_i32_iu8 v198, v169, v165, v200 neg_lo:[1,1,0]
	v_dot4_i32_iu8 v153, v169, v166, v153 neg_lo:[1,1,0]
	v_dot4_i32_iu8 v104, v170, v163, v104 neg_lo:[1,1,0]
	v_dot4_i32_iu8 v169, v170, v164, v111 neg_lo:[1,1,0]
	v_dot4_i32_iu8 v200, v170, v165, v112 neg_lo:[1,1,0]
	v_dot4_i32_iu8 v170, v170, v166, v113 neg_lo:[1,1,0]
	ds_load_b128 v[82:85], v36 offset:3584
	ds_load_b128 v[86:89], v36 offset:3840
	ds_load_b128 v[90:93], v37 offset:20480
	ds_load_b128 v[94:97], v37 offset:20736
	s_wait_dscnt 0x12
	v_dot4_i32_iu8 v126, v171, v159, v126 neg_lo:[1,1,0]
	v_dot4_i32_iu8 v135, v171, v160, v135 neg_lo:[1,1,0]
	v_dot4_i32_iu8 v136, v171, v161, v136 neg_lo:[1,1,0]
	v_dot4_i32_iu8 v137, v171, v162, v137 neg_lo:[1,1,0]
	v_dot4_i32_iu8 v201, v172, v159, v114 neg_lo:[1,1,0]
	v_dot4_i32_iu8 v138, v172, v160, v138 neg_lo:[1,1,0]
	v_dot4_i32_iu8 v154, v172, v161, v154 neg_lo:[1,1,0]
	v_dot4_i32_iu8 v191, v172, v162, v191 neg_lo:[1,1,0]
	v_dot4_i32_iu8 v192, v173, v159, v192 neg_lo:[1,1,0]
	v_dot4_i32_iu8 v193, v173, v160, v193 neg_lo:[1,1,0]
	v_dot4_i32_iu8 v194, v173, v161, v194 neg_lo:[1,1,0]
	v_dot4_i32_iu8 v195, v173, v162, v195 neg_lo:[1,1,0]
	v_dot4_i32_iu8 v159, v174, v159, v115 neg_lo:[1,1,0]
	v_dot4_i32_iu8 v127, v174, v160, v127 neg_lo:[1,1,0]
	v_dot4_i32_iu8 v143, v174, v161, v143 neg_lo:[1,1,0]
	v_dot4_i32_iu8 v144, v174, v162, v144 neg_lo:[1,1,0]
	v_dot4_i32_iu8 v61, v171, v163, v61 neg_lo:[1,1,0]
	v_dot4_i32_iu8 v128, v171, v164, v128 neg_lo:[1,1,0]
	v_dot4_i32_iu8 v129, v171, v165, v129 neg_lo:[1,1,0]
	v_dot4_i32_iu8 v160, v171, v166, v116 neg_lo:[1,1,0]
	v_dot4_i32_iu8 v161, v172, v163, v117 neg_lo:[1,1,0]
	v_dot4_i32_iu8 v162, v172, v164, v118 neg_lo:[1,1,0]
	v_dot4_i32_iu8 v123, v172, v165, v123 neg_lo:[1,1,0]
	v_dot4_i32_iu8 v124, v172, v166, v124 neg_lo:[1,1,0]
	v_dot4_i32_iu8 v130, v173, v163, v130 neg_lo:[1,1,0]
	v_dot4_i32_iu8 v139, v173, v164, v139 neg_lo:[1,1,0]
	v_dot4_i32_iu8 v140, v173, v165, v140 neg_lo:[1,1,0]
	v_dot4_i32_iu8 v125, v173, v166, v125 neg_lo:[1,1,0]
	v_dot4_i32_iu8 v163, v174, v163, v119 neg_lo:[1,1,0]
	v_dot4_i32_iu8 v164, v174, v164, v120 neg_lo:[1,1,0]
	v_dot4_i32_iu8 v165, v174, v165, v121 neg_lo:[1,1,0]
	v_dot4_i32_iu8 v166, v174, v166, v122 neg_lo:[1,1,0]
	s_wait_dscnt 0xf
	v_dot4_i32_iu8 v60, v183, v175, v60 neg_lo:[1,1,0]
	v_dot4_i32_iu8 v103, v183, v176, v103 neg_lo:[1,1,0]
	;; [unrolled: 1-line block ×32, first 2 shown]
	ds_load_b128 v[98:101], v36 offset:4096
	ds_load_b128 v[111:114], v36 offset:4352
	;; [unrolled: 1-line block ×4, first 2 shown]
	s_wait_dscnt 0x12
	v_dot4_i32_iu8 v184, v187, v175, v126 neg_lo:[1,1,0]
	v_dot4_i32_iu8 v135, v187, v176, v135 neg_lo:[1,1,0]
	;; [unrolled: 1-line block ×32, first 2 shown]
	s_wait_dscnt 0xf
	v_dot4_i32_iu8 v179, v16, v70, v60 neg_lo:[1,1,0]
	v_dot4_i32_iu8 v103, v16, v71, v103 neg_lo:[1,1,0]
	;; [unrolled: 1-line block ×32, first 2 shown]
	ds_load_b128 v[123:126], v36 offset:4608
	ds_load_b128 v[127:130], v36 offset:4864
	;; [unrolled: 1-line block ×3, first 2 shown]
	s_wait_dscnt 0x11
	v_dot4_i32_iu8 v181, v20, v70, v184 neg_lo:[1,1,0]
	v_dot4_i32_iu8 v135, v20, v71, v135 neg_lo:[1,1,0]
	;; [unrolled: 1-line block ×16, first 2 shown]
	ds_load_b128 v[70:73], v37 offset:21760
	v_dot4_i32_iu8 v191, v20, v62, v61 neg_lo:[1,1,0]
	v_dot4_i32_iu8 v176, v20, v63, v176 neg_lo:[1,1,0]
	;; [unrolled: 1-line block ×16, first 2 shown]
	s_wait_dscnt 0xf
	v_dot4_i32_iu8 v165, v32, v24, v179 neg_lo:[1,1,0]
	v_dot4_i32_iu8 v103, v32, v25, v103 neg_lo:[1,1,0]
	;; [unrolled: 1-line block ×32, first 2 shown]
	ds_load_b128 v[20:23], v36 offset:5120
	ds_load_b128 v[60:63], v36 offset:5376
	;; [unrolled: 1-line block ×3, first 2 shown]
	s_wait_dscnt 0x11
	v_dot4_i32_iu8 v179, v66, v24, v181 neg_lo:[1,1,0]
	v_dot4_i32_iu8 v135, v66, v25, v135 neg_lo:[1,1,0]
	;; [unrolled: 1-line block ×16, first 2 shown]
	ds_load_b128 v[24:27], v37 offset:22272
	v_dot4_i32_iu8 v186, v66, v28, v191 neg_lo:[1,1,0]
	v_dot4_i32_iu8 v176, v66, v29, v176 neg_lo:[1,1,0]
	;; [unrolled: 1-line block ×16, first 2 shown]
	s_wait_dscnt 0xf
	v_dot4_i32_iu8 v165, v82, v74, v165 neg_lo:[1,1,0]
	v_dot4_i32_iu8 v103, v82, v75, v103 neg_lo:[1,1,0]
	;; [unrolled: 1-line block ×32, first 2 shown]
	ds_load_b128 v[28:31], v36 offset:5632
	ds_load_b128 v[64:67], v36 offset:5888
	s_wait_dscnt 0x10
	v_dot4_i32_iu8 v179, v86, v74, v179 neg_lo:[1,1,0]
	v_dot4_i32_iu8 v135, v86, v75, v135 neg_lo:[1,1,0]
	v_dot4_i32_iu8 v136, v86, v76, v136 neg_lo:[1,1,0]
	v_dot4_i32_iu8 v137, v86, v77, v137 neg_lo:[1,1,0]
	v_dot4_i32_iu8 v180, v87, v74, v180 neg_lo:[1,1,0]
	v_dot4_i32_iu8 v138, v87, v75, v138 neg_lo:[1,1,0]
	v_dot4_i32_iu8 v154, v87, v76, v154 neg_lo:[1,1,0]
	v_dot4_i32_iu8 v181, v87, v77, v181 neg_lo:[1,1,0]
	v_dot4_i32_iu8 v182, v88, v74, v182 neg_lo:[1,1,0]
	v_dot4_i32_iu8 v183, v88, v75, v183 neg_lo:[1,1,0]
	v_dot4_i32_iu8 v184, v88, v76, v184 neg_lo:[1,1,0]
	v_dot4_i32_iu8 v185, v88, v77, v185 neg_lo:[1,1,0]
	v_dot4_i32_iu8 v159, v89, v74, v159 neg_lo:[1,1,0]
	v_dot4_i32_iu8 v175, v89, v75, v175 neg_lo:[1,1,0]
	v_dot4_i32_iu8 v143, v89, v76, v143 neg_lo:[1,1,0]
	v_dot4_i32_iu8 v144, v89, v77, v144 neg_lo:[1,1,0]
	v_dot4_i32_iu8 v186, v86, v78, v186 neg_lo:[1,1,0]
	v_dot4_i32_iu8 v176, v86, v79, v176 neg_lo:[1,1,0]
	v_dot4_i32_iu8 v177, v86, v80, v177 neg_lo:[1,1,0]
	v_dot4_i32_iu8 v160, v86, v81, v160 neg_lo:[1,1,0]
	v_dot4_i32_iu8 v161, v87, v78, v161 neg_lo:[1,1,0]
	v_dot4_i32_iu8 v162, v87, v79, v162 neg_lo:[1,1,0]
	v_dot4_i32_iu8 v178, v87, v80, v178 neg_lo:[1,1,0]
	v_dot4_i32_iu8 v187, v87, v81, v187 neg_lo:[1,1,0]
	v_dot4_i32_iu8 v188, v88, v78, v188 neg_lo:[1,1,0]
	v_dot4_i32_iu8 v139, v88, v79, v139 neg_lo:[1,1,0]
	v_dot4_i32_iu8 v140, v88, v80, v140 neg_lo:[1,1,0]
	v_dot4_i32_iu8 v68, v88, v81, v68 neg_lo:[1,1,0]
	v_dot4_i32_iu8 v163, v89, v78, v163 neg_lo:[1,1,0]
	v_dot4_i32_iu8 v164, v89, v79, v164 neg_lo:[1,1,0]
	v_dot4_i32_iu8 v189, v89, v80, v189 neg_lo:[1,1,0]
	v_dot4_i32_iu8 v69, v89, v81, v69 neg_lo:[1,1,0]
	s_wait_dscnt 0xd
	v_dot4_i32_iu8 v165, v98, v90, v165 neg_lo:[1,1,0]
	v_dot4_i32_iu8 v103, v98, v91, v103 neg_lo:[1,1,0]
	v_dot4_i32_iu8 v102, v98, v92, v102 neg_lo:[1,1,0]
	v_dot4_i32_iu8 v145, v98, v93, v145 neg_lo:[1,1,0]
	v_dot4_i32_iu8 v146, v99, v90, v146 neg_lo:[1,1,0]
	v_dot4_i32_iu8 v147, v99, v91, v147 neg_lo:[1,1,0]
	v_dot4_i32_iu8 v148, v99, v92, v148 neg_lo:[1,1,0]
	v_dot4_i32_iu8 v149, v99, v93, v149 neg_lo:[1,1,0]
	v_dot4_i32_iu8 v150, v100, v90, v150 neg_lo:[1,1,0]
	v_dot4_i32_iu8 v155, v100, v91, v155 neg_lo:[1,1,0]
	v_dot4_i32_iu8 v156, v100, v92, v156 neg_lo:[1,1,0]
	v_dot4_i32_iu8 v131, v100, v93, v131 neg_lo:[1,1,0]
	v_dot4_i32_iu8 v132, v101, v90, v132 neg_lo:[1,1,0]
	v_dot4_i32_iu8 v133, v101, v91, v133 neg_lo:[1,1,0]
	v_dot4_i32_iu8 v134, v101, v92, v134 neg_lo:[1,1,0]
	v_dot4_i32_iu8 v141, v101, v93, v141 neg_lo:[1,1,0]
	v_dot4_i32_iu8 v157, v98, v94, v157 neg_lo:[1,1,0]
	v_dot4_i32_iu8 v158, v98, v95, v158 neg_lo:[1,1,0]
	v_dot4_i32_iu8 v166, v98, v96, v166 neg_lo:[1,1,0]
	v_dot4_i32_iu8 v167, v98, v97, v167 neg_lo:[1,1,0]
	v_dot4_i32_iu8 v142, v99, v94, v142 neg_lo:[1,1,0]
	v_dot4_i32_iu8 v151, v99, v95, v151 neg_lo:[1,1,0]
	v_dot4_i32_iu8 v171, v99, v96, v171 neg_lo:[1,1,0]
	v_dot4_i32_iu8 v152, v99, v97, v152 neg_lo:[1,1,0]
	v_dot4_i32_iu8 v168, v100, v94, v168 neg_lo:[1,1,0]
	v_dot4_i32_iu8 v172, v100, v95, v172 neg_lo:[1,1,0]
	v_dot4_i32_iu8 v173, v100, v96, v173 neg_lo:[1,1,0]
	v_dot4_i32_iu8 v153, v100, v97, v153 neg_lo:[1,1,0]
	v_dot4_i32_iu8 v104, v101, v94, v104 neg_lo:[1,1,0]
	v_dot4_i32_iu8 v169, v101, v95, v169 neg_lo:[1,1,0]
	v_dot4_i32_iu8 v174, v101, v96, v174 neg_lo:[1,1,0]
	v_dot4_i32_iu8 v170, v101, v97, v170 neg_lo:[1,1,0]
	;; [unrolled: 33-line block ×6, first 2 shown]
	v_add_nc_u32_e32 v107, v41, v47
	ds_load_b128 v[82:85], v37 offset:22528
	ds_load_b128 v[74:77], v37 offset:22784
	;; [unrolled: 1-line block ×13, first 2 shown]
	s_wait_dscnt 0x11
	v_dot4_i32_iu8 v170, v60, v16, v179 neg_lo:[1,1,0]
	v_dot4_i32_iu8 v173, v60, v17, v135 neg_lo:[1,1,0]
	;; [unrolled: 1-line block ×16, first 2 shown]
	ds_load_b128 v[135:138], v37 offset:24320
	v_dot4_i32_iu8 v143, v60, v70, v186 neg_lo:[1,1,0]
	v_dot4_i32_iu8 v144, v60, v71, v176 neg_lo:[1,1,0]
	;; [unrolled: 1-line block ×16, first 2 shown]
	ds_load_b128 v[68:71], v36 offset:7680
	ds_load_b128 v[139:142], v36 offset:7936
	s_wait_dscnt 0x11
	v_dot4_i32_iu8 v73, v28, v32, v165 neg_lo:[1,1,0]
	v_dot4_i32_iu8 v103, v28, v33, v103 neg_lo:[1,1,0]
	;; [unrolled: 1-line block ×32, first 2 shown]
	buffer_load_b128 v[28:31], v106, s[28:31], null offen
	v_add3_u32 v60, v109, v108, v110
	buffer_load_b128 v[106:109], v107, s[28:31], null offen
	buffer_load_b128 v[20:23], v110, s[24:27], null offen
	s_wait_dscnt 0x10
	v_dot4_i32_iu8 v170, v64, v32, v170 neg_lo:[1,1,0]
	v_dot4_i32_iu8 v173, v64, v33, v173 neg_lo:[1,1,0]
	;; [unrolled: 1-line block ×16, first 2 shown]
	buffer_load_b128 v[16:19], v60, s[24:27], null offen
	v_dot4_i32_iu8 v110, v64, v24, v143 neg_lo:[1,1,0]
	v_dot4_i32_iu8 v143, v64, v25, v144 neg_lo:[1,1,0]
	v_dot4_i32_iu8 v144, v64, v26, v159 neg_lo:[1,1,0]
	v_dot4_i32_iu8 v64, v64, v27, v160 neg_lo:[1,1,0]
	v_dot4_i32_iu8 v159, v65, v24, v161 neg_lo:[1,1,0]
	v_dot4_i32_iu8 v160, v65, v25, v162 neg_lo:[1,1,0]
	v_dot4_i32_iu8 v161, v65, v26, v175 neg_lo:[1,1,0]
	v_dot4_i32_iu8 v61, v65, v27, v61 neg_lo:[1,1,0]
	v_dot4_i32_iu8 v65, v66, v24, v176 neg_lo:[1,1,0]
	v_dot4_i32_iu8 v162, v66, v25, v177 neg_lo:[1,1,0]
	v_dot4_i32_iu8 v175, v66, v26, v178 neg_lo:[1,1,0]
	v_dot4_i32_iu8 v62, v66, v27, v62 neg_lo:[1,1,0]
	v_dot4_i32_iu8 v24, v67, v24, v163 neg_lo:[1,1,0]
	v_dot4_i32_iu8 v25, v67, v25, v164 neg_lo:[1,1,0]
	v_dot4_i32_iu8 v26, v67, v26, v72 neg_lo:[1,1,0]
	v_dot4_i32_iu8 v27, v67, v27, v63 neg_lo:[1,1,0]
	s_wait_dscnt 0xd
	v_dot4_i32_iu8 v63, v78, v82, v73 neg_lo:[1,1,0]
	v_dot4_i32_iu8 v66, v78, v83, v103 neg_lo:[1,1,0]
	v_dot4_i32_iu8 v67, v78, v84, v102 neg_lo:[1,1,0]
	v_dot4_i32_iu8 v72, v78, v85, v145 neg_lo:[1,1,0]
	v_dot4_i32_iu8 v73, v79, v82, v146 neg_lo:[1,1,0]
	v_dot4_i32_iu8 v102, v79, v83, v147 neg_lo:[1,1,0]
	v_dot4_i32_iu8 v103, v79, v84, v148 neg_lo:[1,1,0]
	v_dot4_i32_iu8 v145, v79, v85, v149 neg_lo:[1,1,0]
	v_dot4_i32_iu8 v146, v80, v82, v150 neg_lo:[1,1,0]
	v_dot4_i32_iu8 v147, v80, v83, v155 neg_lo:[1,1,0]
	v_dot4_i32_iu8 v148, v80, v84, v156 neg_lo:[1,1,0]
	v_dot4_i32_iu8 v149, v80, v85, v165 neg_lo:[1,1,0]
	v_dot4_i32_iu8 v150, v81, v82, v186 neg_lo:[1,1,0]
	v_dot4_i32_iu8 v155, v81, v83, v187 neg_lo:[1,1,0]
	v_dot4_i32_iu8 v156, v81, v84, v188 neg_lo:[1,1,0]
	v_dot4_i32_iu8 v163, v81, v85, v189 neg_lo:[1,1,0]
	v_dot4_i32_iu8 v157, v78, v74, v157 neg_lo:[1,1,0]
	v_dot4_i32_iu8 v158, v78, v75, v158 neg_lo:[1,1,0]
	v_dot4_i32_iu8 v164, v78, v76, v166 neg_lo:[1,1,0]
	v_dot4_i32_iu8 v78, v78, v77, v190 neg_lo:[1,1,0]
	v_dot4_i32_iu8 v165, v79, v74, v167 neg_lo:[1,1,0]
	v_dot4_i32_iu8 v151, v79, v75, v151 neg_lo:[1,1,0]
	v_dot4_i32_iu8 v166, v79, v76, v171 neg_lo:[1,1,0]
	v_dot4_i32_iu8 v79, v79, v77, v191 neg_lo:[1,1,0]
	v_dot4_i32_iu8 v152, v80, v74, v152 neg_lo:[1,1,0]
	v_dot4_i32_iu8 v167, v80, v75, v168 neg_lo:[1,1,0]
	v_dot4_i32_iu8 v168, v80, v76, v172 neg_lo:[1,1,0]
	v_dot4_i32_iu8 v80, v80, v77, v192 neg_lo:[1,1,0]
	v_dot4_i32_iu8 v104, v81, v74, v104 neg_lo:[1,1,0]
	v_dot4_i32_iu8 v153, v81, v75, v153 neg_lo:[1,1,0]
	v_dot4_i32_iu8 v169, v81, v76, v169 neg_lo:[1,1,0]
	v_dot4_i32_iu8 v81, v81, v77, v193 neg_lo:[1,1,0]
	s_wait_dscnt 0xc
	v_dot4_i32_iu8 v170, v86, v82, v170 neg_lo:[1,1,0]
	v_dot4_i32_iu8 v171, v86, v83, v173 neg_lo:[1,1,0]
	v_dot4_i32_iu8 v172, v86, v84, v174 neg_lo:[1,1,0]
	v_dot4_i32_iu8 v173, v86, v85, v179 neg_lo:[1,1,0]
	v_dot4_i32_iu8 v174, v87, v82, v180 neg_lo:[1,1,0]
	v_dot4_i32_iu8 v176, v87, v83, v194 neg_lo:[1,1,0]
	v_dot4_i32_iu8 v154, v87, v84, v154 neg_lo:[1,1,0]
	v_dot4_i32_iu8 v177, v87, v85, v181 neg_lo:[1,1,0]
	v_dot4_i32_iu8 v178, v88, v82, v182 neg_lo:[1,1,0]
	v_dot4_i32_iu8 v179, v88, v83, v183 neg_lo:[1,1,0]
	v_dot4_i32_iu8 v180, v88, v84, v184 neg_lo:[1,1,0]
	v_dot4_i32_iu8 v181, v88, v85, v185 neg_lo:[1,1,0]
	v_dot4_i32_iu8 v32, v89, v82, v32 neg_lo:[1,1,0]
	v_dot4_i32_iu8 v33, v89, v83, v33 neg_lo:[1,1,0]
	v_dot4_i32_iu8 v34, v89, v84, v34 neg_lo:[1,1,0]
	v_dot4_i32_iu8 v35, v89, v85, v35 neg_lo:[1,1,0]
	v_dot4_i32_iu8 v82, v86, v74, v110 neg_lo:[1,1,0]
	v_dot4_i32_iu8 v83, v86, v75, v143 neg_lo:[1,1,0]
	v_dot4_i32_iu8 v84, v86, v76, v144 neg_lo:[1,1,0]
	v_dot4_i32_iu8 v64, v86, v77, v64 neg_lo:[1,1,0]
	v_dot4_i32_iu8 v85, v87, v74, v159 neg_lo:[1,1,0]
	v_dot4_i32_iu8 v86, v87, v75, v160 neg_lo:[1,1,0]
	v_dot4_i32_iu8 v110, v87, v76, v161 neg_lo:[1,1,0]
	v_dot4_i32_iu8 v61, v87, v77, v61 neg_lo:[1,1,0]
	v_dot4_i32_iu8 v65, v88, v74, v65 neg_lo:[1,1,0]
	v_dot4_i32_iu8 v87, v88, v75, v162 neg_lo:[1,1,0]
	v_dot4_i32_iu8 v143, v88, v76, v175 neg_lo:[1,1,0]
	v_dot4_i32_iu8 v62, v88, v77, v62 neg_lo:[1,1,0]
	v_dot4_i32_iu8 v24, v89, v74, v24 neg_lo:[1,1,0]
	v_dot4_i32_iu8 v25, v89, v75, v25 neg_lo:[1,1,0]
	v_dot4_i32_iu8 v26, v89, v76, v26 neg_lo:[1,1,0]
	v_dot4_i32_iu8 v27, v89, v77, v27 neg_lo:[1,1,0]
	s_wait_dscnt 0x9
	v_dot4_i32_iu8 v63, v94, v98, v63 neg_lo:[1,1,0]
	v_dot4_i32_iu8 v66, v94, v99, v66 neg_lo:[1,1,0]
	v_dot4_i32_iu8 v67, v94, v100, v67 neg_lo:[1,1,0]
	v_dot4_i32_iu8 v72, v94, v101, v72 neg_lo:[1,1,0]
	v_dot4_i32_iu8 v73, v95, v98, v73 neg_lo:[1,1,0]
	v_dot4_i32_iu8 v74, v95, v99, v102 neg_lo:[1,1,0]
	v_dot4_i32_iu8 v75, v95, v100, v103 neg_lo:[1,1,0]
	v_dot4_i32_iu8 v76, v95, v101, v145 neg_lo:[1,1,0]
	v_dot4_i32_iu8 v77, v96, v98, v146 neg_lo:[1,1,0]
	v_dot4_i32_iu8 v88, v96, v99, v147 neg_lo:[1,1,0]
	v_dot4_i32_iu8 v89, v96, v100, v148 neg_lo:[1,1,0]
	v_dot4_i32_iu8 v102, v96, v101, v149 neg_lo:[1,1,0]
	v_dot4_i32_iu8 v103, v97, v98, v150 neg_lo:[1,1,0]
	v_dot4_i32_iu8 v144, v97, v99, v155 neg_lo:[1,1,0]
	v_dot4_i32_iu8 v145, v97, v100, v156 neg_lo:[1,1,0]
	v_dot4_i32_iu8 v146, v97, v101, v163 neg_lo:[1,1,0]
	v_dot4_i32_iu8 v147, v94, v90, v157 neg_lo:[1,1,0]
	v_dot4_i32_iu8 v148, v94, v91, v158 neg_lo:[1,1,0]
	v_dot4_i32_iu8 v149, v94, v92, v164 neg_lo:[1,1,0]
	v_dot4_i32_iu8 v78, v94, v93, v78 neg_lo:[1,1,0]
	v_dot4_i32_iu8 v94, v95, v90, v165 neg_lo:[1,1,0]
	v_dot4_i32_iu8 v150, v95, v91, v151 neg_lo:[1,1,0]
	v_dot4_i32_iu8 v151, v95, v92, v166 neg_lo:[1,1,0]
	v_dot4_i32_iu8 v79, v95, v93, v79 neg_lo:[1,1,0]
	v_dot4_i32_iu8 v95, v96, v90, v152 neg_lo:[1,1,0]
	v_dot4_i32_iu8 v152, v96, v91, v167 neg_lo:[1,1,0]
	v_dot4_i32_iu8 v155, v96, v92, v168 neg_lo:[1,1,0]
	v_dot4_i32_iu8 v80, v96, v93, v80 neg_lo:[1,1,0]
	v_dot4_i32_iu8 v96, v97, v90, v104 neg_lo:[1,1,0]
	v_dot4_i32_iu8 v104, v97, v91, v153 neg_lo:[1,1,0]
	v_dot4_i32_iu8 v153, v97, v92, v169 neg_lo:[1,1,0]
	v_dot4_i32_iu8 v81, v97, v93, v81 neg_lo:[1,1,0]
	s_wait_dscnt 0x8
	v_dot4_i32_iu8 v97, v111, v98, v170 neg_lo:[1,1,0]
	v_dot4_i32_iu8 v156, v111, v99, v171 neg_lo:[1,1,0]
	v_dot4_i32_iu8 v157, v111, v100, v172 neg_lo:[1,1,0]
	v_dot4_i32_iu8 v158, v111, v101, v173 neg_lo:[1,1,0]
	v_dot4_i32_iu8 v159, v112, v98, v174 neg_lo:[1,1,0]
	v_dot4_i32_iu8 v160, v112, v99, v176 neg_lo:[1,1,0]
	v_dot4_i32_iu8 v154, v112, v100, v154 neg_lo:[1,1,0]
	v_dot4_i32_iu8 v161, v112, v101, v177 neg_lo:[1,1,0]
	v_dot4_i32_iu8 v162, v113, v98, v178 neg_lo:[1,1,0]
	v_dot4_i32_iu8 v163, v113, v99, v179 neg_lo:[1,1,0]
	v_dot4_i32_iu8 v164, v113, v100, v180 neg_lo:[1,1,0]
	v_dot4_i32_iu8 v165, v113, v101, v181 neg_lo:[1,1,0]
	v_dot4_i32_iu8 v32, v114, v98, v32 neg_lo:[1,1,0]
	v_dot4_i32_iu8 v33, v114, v99, v33 neg_lo:[1,1,0]
	v_dot4_i32_iu8 v34, v114, v100, v34 neg_lo:[1,1,0]
	v_dot4_i32_iu8 v35, v114, v101, v35 neg_lo:[1,1,0]
	v_dot4_i32_iu8 v82, v111, v90, v82 neg_lo:[1,1,0]
	v_dot4_i32_iu8 v83, v111, v91, v83 neg_lo:[1,1,0]
	;; [unrolled: 1-line block ×16, first 2 shown]
	s_wait_loadcnt 0x7
	v_cndmask_b32_e64 v5, 0, v5, s7
	v_cndmask_b32_e64 v4, 0, v4, s7
	s_and_b32 s64, s11, s8
	s_and_b32 s4, s10, s4
	v_cndmask_b32_e64 v7, 0, v7, s7
	v_cndmask_b32_e64 v6, 0, v6, s7
	s_wait_loadcnt 0x6
	v_cndmask_b32_e64 v1, 0, v1, s3
	v_cndmask_b32_e64 v0, 0, v0, s3
	v_cmp_gt_i32_e64 s5, s54, v48
	s_wait_alu 0xfffe
	s_and_b32 s63, s4, s12
	s_and_b32 s8, s2, s13
	;; [unrolled: 1-line block ×3, first 2 shown]
	s_wait_dscnt 0x5
	v_dot4_i32_iu8 v63, v119, v123, v63 neg_lo:[1,1,0]
	v_dot4_i32_iu8 v66, v119, v124, v66 neg_lo:[1,1,0]
	;; [unrolled: 1-line block ×32, first 2 shown]
	s_wait_dscnt 0x4
	v_dot4_i32_iu8 v97, v127, v123, v97 neg_lo:[1,1,0]
	v_dot4_i32_iu8 v119, v127, v124, v156 neg_lo:[1,1,0]
	;; [unrolled: 1-line block ×32, first 2 shown]
	v_cndmask_b32_e64 v3, 0, v3, s3
	v_cndmask_b32_e64 v2, 0, v2, s3
	ds_store_2addr_stride64_b32 v40, v4, v5 offset0:96 offset1:98
	ds_store_2addr_stride64_b32 v40, v6, v7 offset0:100 offset1:102
	;; [unrolled: 1-line block ×4, first 2 shown]
	s_wait_loadcnt 0x5
	s_wait_alu 0xfffe
	v_cndmask_b32_e64 v2, 0, v9, s8
	v_cndmask_b32_e64 v3, 0, v8, s8
	s_wait_loadcnt 0x4
	v_cndmask_b32_e64 v6, 0, v13, s4
	v_cndmask_b32_e64 v7, 0, v12, s4
	v_cmp_gt_i32_e64 s6, s54, v47
	v_cndmask_b32_e64 v0, 0, v11, s8
	v_cndmask_b32_e64 v1, 0, v10, s8
	;; [unrolled: 1-line block ×4, first 2 shown]
	s_and_b32 s13, vcc_lo, s5
	s_wait_dscnt 0x5
	v_dot4_i32_iu8 v130, v68, v131, v63 neg_lo:[1,1,0]
	v_dot4_i32_iu8 v150, v68, v132, v66 neg_lo:[1,1,0]
	;; [unrolled: 1-line block ×32, first 2 shown]
	s_wait_dscnt 0x4
	v_dot4_i32_iu8 v181, v139, v131, v97 neg_lo:[1,1,0]
	v_dot4_i32_iu8 v182, v139, v132, v119 neg_lo:[1,1,0]
	;; [unrolled: 1-line block ×32, first 2 shown]
	ds_store_2addr_stride64_b32 v40, v3, v2 offset0:32 offset1:34
	ds_store_2addr_stride64_b32 v40, v1, v0 offset0:36 offset1:38
	s_wait_loadcnt 0x3
	s_wait_alu 0xfffe
	v_cndmask_b32_e64 v65, 0, v31, s13
	v_cndmask_b32_e64 v66, 0, v30, s13
	;; [unrolled: 1-line block ×4, first 2 shown]
	ds_store_2addr_stride64_b32 v40, v7, v6 offset0:40 offset1:42
	ds_store_2addr_stride64_b32 v40, v5, v4 offset0:44 offset1:46
	s_wait_dscnt 0x0
	s_barrier_signal -1
	s_barrier_wait -1
	ds_load_b128 v[0:3], v36 offset:8192
	ds_load_b128 v[4:7], v37 offset:24576
	;; [unrolled: 1-line block ×21, first 2 shown]
	s_and_b32 s12, vcc_lo, s6
	s_wait_dscnt 0x13
	v_dot4_i32_iu8 v142, v1, v5, v154 neg_lo:[1,1,0]
	s_wait_loadcnt 0x2
	s_wait_alu 0xfffe
	v_cndmask_b32_e64 v61, 0, v109, s12
	v_cndmask_b32_e64 v62, 0, v108, s12
	;; [unrolled: 1-line block ×4, first 2 shown]
	v_dot4_i32_iu8 v106, v0, v4, v130 neg_lo:[1,1,0]
	v_dot4_i32_iu8 v107, v0, v5, v150 neg_lo:[1,1,0]
	;; [unrolled: 1-line block ×15, first 2 shown]
	s_wait_dscnt 0x12
	v_dot4_i32_iu8 v160, v0, v8, v165 neg_lo:[1,1,0]
	v_dot4_i32_iu8 v161, v0, v9, v166 neg_lo:[1,1,0]
	;; [unrolled: 1-line block ×16, first 2 shown]
	s_wait_dscnt 0x11
	v_dot4_i32_iu8 v176, v12, v4, v181 neg_lo:[1,1,0]
	v_dot4_i32_iu8 v177, v12, v5, v182 neg_lo:[1,1,0]
	;; [unrolled: 1-line block ×32, first 2 shown]
	ds_load_b128 v[0:3], v37 offset:27136
	ds_load_b128 v[4:7], v37 offset:27392
	s_wait_dscnt 0x10
	v_dot4_i32_iu8 v106, v32, v24, v106 neg_lo:[1,1,0]
	v_dot4_i32_iu8 v107, v32, v25, v107 neg_lo:[1,1,0]
	;; [unrolled: 1-line block ×32, first 2 shown]
	s_wait_dscnt 0xf
	v_dot4_i32_iu8 v172, v69, v24, v176 neg_lo:[1,1,0]
	v_dot4_i32_iu8 v173, v69, v25, v177 neg_lo:[1,1,0]
	;; [unrolled: 1-line block ×32, first 2 shown]
	ds_load_b128 v[8:11], v36 offset:11008
	ds_load_b128 v[12:15], v36 offset:11264
	;; [unrolled: 1-line block ×4, first 2 shown]
	s_wait_dscnt 0x10
	v_dot4_i32_iu8 v189, v81, v73, v106 neg_lo:[1,1,0]
	v_dot4_i32_iu8 v190, v81, v74, v107 neg_lo:[1,1,0]
	;; [unrolled: 1-line block ×32, first 2 shown]
	s_wait_dscnt 0xf
	v_dot4_i32_iu8 v172, v85, v73, v172 neg_lo:[1,1,0]
	v_dot4_i32_iu8 v173, v85, v74, v173 neg_lo:[1,1,0]
	;; [unrolled: 1-line block ×32, first 2 shown]
	ds_load_b128 v[28:31], v36 offset:11520
	ds_load_b128 v[69:72], v36 offset:11776
	s_and_b32 s6, s2, s63
	ds_load_b128 v[81:84], v37 offset:28160
	ds_load_b128 v[73:76], v37 offset:28416
	ds_load_b128 v[77:80], v36 offset:12032
	ds_load_b128 v[85:88], v36 offset:12288
	s_wait_loadcnt 0x1
	s_wait_alu 0xfffe
	v_cndmask_b32_e64 v106, 0, v23, s6
	v_cndmask_b32_e64 v107, 0, v22, s6
	;; [unrolled: 1-line block ×4, first 2 shown]
	s_wait_dscnt 0x12
	v_dot4_i32_iu8 v20, v97, v89, v189 neg_lo:[1,1,0]
	v_dot4_i32_iu8 v21, v97, v90, v190 neg_lo:[1,1,0]
	v_dot4_i32_iu8 v22, v97, v91, v191 neg_lo:[1,1,0]
	v_dot4_i32_iu8 v23, v97, v92, v192 neg_lo:[1,1,0]
	v_dot4_i32_iu8 v189, v98, v89, v193 neg_lo:[1,1,0]
	v_dot4_i32_iu8 v142, v98, v90, v142 neg_lo:[1,1,0]
	v_dot4_i32_iu8 v150, v98, v91, v150 neg_lo:[1,1,0]
	v_dot4_i32_iu8 v151, v98, v92, v151 neg_lo:[1,1,0]
	v_dot4_i32_iu8 v152, v99, v89, v152 neg_lo:[1,1,0]
	v_dot4_i32_iu8 v153, v99, v90, v153 neg_lo:[1,1,0]
	v_dot4_i32_iu8 v154, v99, v91, v154 neg_lo:[1,1,0]
	v_dot4_i32_iu8 v155, v99, v92, v155 neg_lo:[1,1,0]
	v_dot4_i32_iu8 v156, v100, v89, v156 neg_lo:[1,1,0]
	v_dot4_i32_iu8 v157, v100, v90, v157 neg_lo:[1,1,0]
	v_dot4_i32_iu8 v158, v100, v91, v158 neg_lo:[1,1,0]
	v_dot4_i32_iu8 v159, v100, v92, v159 neg_lo:[1,1,0]
	v_dot4_i32_iu8 v160, v97, v93, v160 neg_lo:[1,1,0]
	v_dot4_i32_iu8 v161, v97, v94, v161 neg_lo:[1,1,0]
	v_dot4_i32_iu8 v162, v97, v95, v162 neg_lo:[1,1,0]
	v_dot4_i32_iu8 v32, v97, v96, v32 neg_lo:[1,1,0]
	v_dot4_i32_iu8 v163, v98, v93, v163 neg_lo:[1,1,0]
	v_dot4_i32_iu8 v164, v98, v94, v164 neg_lo:[1,1,0]
	v_dot4_i32_iu8 v165, v98, v95, v165 neg_lo:[1,1,0]
	v_dot4_i32_iu8 v33, v98, v96, v33 neg_lo:[1,1,0]
	v_dot4_i32_iu8 v166, v99, v93, v166 neg_lo:[1,1,0]
	v_dot4_i32_iu8 v167, v99, v94, v167 neg_lo:[1,1,0]
	v_dot4_i32_iu8 v168, v99, v95, v168 neg_lo:[1,1,0]
	v_dot4_i32_iu8 v34, v99, v96, v34 neg_lo:[1,1,0]
	v_dot4_i32_iu8 v169, v100, v93, v169 neg_lo:[1,1,0]
	v_dot4_i32_iu8 v170, v100, v94, v170 neg_lo:[1,1,0]
	v_dot4_i32_iu8 v171, v100, v95, v171 neg_lo:[1,1,0]
	v_dot4_i32_iu8 v35, v100, v96, v35 neg_lo:[1,1,0]
	s_wait_dscnt 0x11
	v_dot4_i32_iu8 v172, v101, v89, v172 neg_lo:[1,1,0]
	v_dot4_i32_iu8 v173, v101, v90, v173 neg_lo:[1,1,0]
	v_dot4_i32_iu8 v174, v101, v91, v174 neg_lo:[1,1,0]
	v_dot4_i32_iu8 v175, v101, v92, v175 neg_lo:[1,1,0]
	v_dot4_i32_iu8 v176, v102, v89, v176 neg_lo:[1,1,0]
	v_dot4_i32_iu8 v143, v102, v90, v143 neg_lo:[1,1,0]
	v_dot4_i32_iu8 v144, v102, v91, v144 neg_lo:[1,1,0]
	v_dot4_i32_iu8 v145, v102, v92, v145 neg_lo:[1,1,0]
	v_dot4_i32_iu8 v146, v103, v89, v146 neg_lo:[1,1,0]
	v_dot4_i32_iu8 v147, v103, v90, v147 neg_lo:[1,1,0]
	v_dot4_i32_iu8 v148, v103, v91, v148 neg_lo:[1,1,0]
	v_dot4_i32_iu8 v149, v103, v92, v149 neg_lo:[1,1,0]
	v_dot4_i32_iu8 v177, v104, v89, v177 neg_lo:[1,1,0]
	v_dot4_i32_iu8 v178, v104, v90, v178 neg_lo:[1,1,0]
	v_dot4_i32_iu8 v179, v104, v91, v179 neg_lo:[1,1,0]
	v_dot4_i32_iu8 v134, v104, v92, v134 neg_lo:[1,1,0]
	v_dot4_i32_iu8 v180, v101, v93, v180 neg_lo:[1,1,0]
	v_dot4_i32_iu8 v181, v101, v94, v181 neg_lo:[1,1,0]
	v_dot4_i32_iu8 v182, v101, v95, v182 neg_lo:[1,1,0]
	v_dot4_i32_iu8 v139, v101, v96, v139 neg_lo:[1,1,0]
	v_dot4_i32_iu8 v183, v102, v93, v183 neg_lo:[1,1,0]
	v_dot4_i32_iu8 v184, v102, v94, v184 neg_lo:[1,1,0]
	v_dot4_i32_iu8 v185, v102, v95, v185 neg_lo:[1,1,0]
	v_dot4_i32_iu8 v140, v102, v96, v140 neg_lo:[1,1,0]
	v_dot4_i32_iu8 v186, v103, v93, v186 neg_lo:[1,1,0]
	v_dot4_i32_iu8 v187, v103, v94, v187 neg_lo:[1,1,0]
	v_dot4_i32_iu8 v188, v103, v95, v188 neg_lo:[1,1,0]
	v_dot4_i32_iu8 v141, v103, v96, v141 neg_lo:[1,1,0]
	v_dot4_i32_iu8 v135, v104, v93, v135 neg_lo:[1,1,0]
	v_dot4_i32_iu8 v136, v104, v94, v136 neg_lo:[1,1,0]
	v_dot4_i32_iu8 v137, v104, v95, v137 neg_lo:[1,1,0]
	v_dot4_i32_iu8 v138, v104, v96, v138 neg_lo:[1,1,0]
	;; [unrolled: 33-line block ×4, first 2 shown]
	s_wait_dscnt 0xb
	v_dot4_i32_iu8 v193, v126, v0, v20 neg_lo:[1,1,0]
	v_dot4_i32_iu8 v194, v126, v1, v21 neg_lo:[1,1,0]
	v_dot4_i32_iu8 v195, v126, v2, v22 neg_lo:[1,1,0]
	v_dot4_i32_iu8 v196, v126, v3, v23 neg_lo:[1,1,0]
	v_dot4_i32_iu8 v189, v127, v0, v189 neg_lo:[1,1,0]
	v_dot4_i32_iu8 v142, v127, v1, v142 neg_lo:[1,1,0]
	v_dot4_i32_iu8 v150, v127, v2, v150 neg_lo:[1,1,0]
	v_dot4_i32_iu8 v151, v127, v3, v151 neg_lo:[1,1,0]
	v_dot4_i32_iu8 v152, v128, v0, v152 neg_lo:[1,1,0]
	v_dot4_i32_iu8 v153, v128, v1, v153 neg_lo:[1,1,0]
	v_dot4_i32_iu8 v154, v128, v2, v154 neg_lo:[1,1,0]
	v_dot4_i32_iu8 v155, v128, v3, v155 neg_lo:[1,1,0]
	v_dot4_i32_iu8 v156, v129, v0, v156 neg_lo:[1,1,0]
	v_dot4_i32_iu8 v157, v129, v1, v157 neg_lo:[1,1,0]
	v_dot4_i32_iu8 v158, v129, v2, v158 neg_lo:[1,1,0]
	v_dot4_i32_iu8 v159, v129, v3, v159 neg_lo:[1,1,0]
	s_wait_dscnt 0xa
	v_dot4_i32_iu8 v160, v126, v4, v160 neg_lo:[1,1,0]
	v_dot4_i32_iu8 v161, v126, v5, v161 neg_lo:[1,1,0]
	v_dot4_i32_iu8 v162, v126, v6, v162 neg_lo:[1,1,0]
	v_dot4_i32_iu8 v197, v126, v7, v32 neg_lo:[1,1,0]
	v_dot4_i32_iu8 v163, v127, v4, v163 neg_lo:[1,1,0]
	v_dot4_i32_iu8 v164, v127, v5, v164 neg_lo:[1,1,0]
	v_dot4_i32_iu8 v165, v127, v6, v165 neg_lo:[1,1,0]
	v_dot4_i32_iu8 v198, v127, v7, v33 neg_lo:[1,1,0]
	v_dot4_i32_iu8 v166, v128, v4, v166 neg_lo:[1,1,0]
	v_dot4_i32_iu8 v167, v128, v5, v167 neg_lo:[1,1,0]
	v_dot4_i32_iu8 v168, v128, v6, v168 neg_lo:[1,1,0]
	v_dot4_i32_iu8 v199, v128, v7, v34 neg_lo:[1,1,0]
	v_dot4_i32_iu8 v169, v129, v4, v169 neg_lo:[1,1,0]
	v_dot4_i32_iu8 v170, v129, v5, v170 neg_lo:[1,1,0]
	v_dot4_i32_iu8 v171, v129, v6, v171 neg_lo:[1,1,0]
	v_dot4_i32_iu8 v200, v129, v7, v35 neg_lo:[1,1,0]
	;; [unrolled: 17-line block ×3, first 2 shown]
	v_dot4_i32_iu8 v180, v8, v4, v180 neg_lo:[1,1,0]
	v_dot4_i32_iu8 v181, v8, v5, v181 neg_lo:[1,1,0]
	v_dot4_i32_iu8 v182, v8, v6, v182 neg_lo:[1,1,0]
	v_dot4_i32_iu8 v8, v8, v7, v139 neg_lo:[1,1,0]
	v_dot4_i32_iu8 v139, v9, v4, v183 neg_lo:[1,1,0]
	v_dot4_i32_iu8 v183, v9, v5, v184 neg_lo:[1,1,0]
	v_dot4_i32_iu8 v184, v9, v6, v185 neg_lo:[1,1,0]
	v_dot4_i32_iu8 v9, v9, v7, v140 neg_lo:[1,1,0]
	v_dot4_i32_iu8 v140, v10, v4, v186 neg_lo:[1,1,0]
	v_dot4_i32_iu8 v185, v10, v5, v187 neg_lo:[1,1,0]
	v_dot4_i32_iu8 v186, v10, v6, v188 neg_lo:[1,1,0]
	v_dot4_i32_iu8 v10, v10, v7, v141 neg_lo:[1,1,0]
	v_dot4_i32_iu8 v141, v11, v4, v190 neg_lo:[1,1,0]
	v_dot4_i32_iu8 v187, v11, v5, v191 neg_lo:[1,1,0]
	v_dot4_i32_iu8 v188, v11, v6, v192 neg_lo:[1,1,0]
	v_dot4_i32_iu8 v11, v11, v7, v138 neg_lo:[1,1,0]
	s_wait_dscnt 0x7
	v_dot4_i32_iu8 v138, v12, v130, v193 neg_lo:[1,1,0]
	v_dot4_i32_iu8 v190, v12, v131, v194 neg_lo:[1,1,0]
	v_dot4_i32_iu8 v191, v12, v132, v195 neg_lo:[1,1,0]
	v_dot4_i32_iu8 v192, v12, v133, v196 neg_lo:[1,1,0]
	v_dot4_i32_iu8 v189, v13, v130, v189 neg_lo:[1,1,0]
	v_dot4_i32_iu8 v142, v13, v131, v142 neg_lo:[1,1,0]
	v_dot4_i32_iu8 v150, v13, v132, v150 neg_lo:[1,1,0]
	v_dot4_i32_iu8 v151, v13, v133, v151 neg_lo:[1,1,0]
	v_dot4_i32_iu8 v152, v14, v130, v152 neg_lo:[1,1,0]
	v_dot4_i32_iu8 v153, v14, v131, v153 neg_lo:[1,1,0]
	v_dot4_i32_iu8 v154, v14, v132, v154 neg_lo:[1,1,0]
	v_dot4_i32_iu8 v155, v14, v133, v155 neg_lo:[1,1,0]
	v_dot4_i32_iu8 v156, v15, v130, v156 neg_lo:[1,1,0]
	v_dot4_i32_iu8 v157, v15, v131, v157 neg_lo:[1,1,0]
	v_dot4_i32_iu8 v158, v15, v132, v158 neg_lo:[1,1,0]
	v_dot4_i32_iu8 v159, v15, v133, v159 neg_lo:[1,1,0]
	s_wait_dscnt 0x6
	;; [unrolled: 17-line block ×3, first 2 shown]
	v_dot4_i32_iu8 v172, v28, v130, v172 neg_lo:[1,1,0]
	v_dot4_i32_iu8 v173, v28, v131, v173 neg_lo:[1,1,0]
	;; [unrolled: 1-line block ×32, first 2 shown]
	ds_load_b128 v[97:100], v37 offset:28672
	ds_load_b128 v[89:92], v37 offset:28928
	;; [unrolled: 1-line block ×16, first 2 shown]
	s_wait_dscnt 0x13
	v_dot4_i32_iu8 v138, v69, v81, v138 neg_lo:[1,1,0]
	v_dot4_i32_iu8 v190, v69, v82, v190 neg_lo:[1,1,0]
	;; [unrolled: 1-line block ×16, first 2 shown]
	s_wait_dscnt 0x12
	v_dot4_i32_iu8 v160, v69, v73, v160 neg_lo:[1,1,0]
	v_dot4_i32_iu8 v161, v69, v74, v161 neg_lo:[1,1,0]
	;; [unrolled: 1-line block ×16, first 2 shown]
	ds_load_b128 v[8:11], v37 offset:32256
	ds_load_b128 v[12:15], v37 offset:32512
	s_wait_dscnt 0x13
	v_dot4_i32_iu8 v172, v77, v81, v172 neg_lo:[1,1,0]
	v_dot4_i32_iu8 v173, v77, v82, v173 neg_lo:[1,1,0]
	;; [unrolled: 1-line block ×30, first 2 shown]
	ds_load_b128 v[75:78], v36 offset:15872
	ds_load_b128 v[28:31], v36 offset:16128
	ds_store_2addr_stride64_b32 v40, v68, v67 offset0:64 offset1:66
	ds_store_2addr_stride64_b32 v40, v66, v65 offset0:68 offset1:70
	ds_load_b128 v[65:68], v36 offset:12544
	v_dot4_i32_iu8 v149, v79, v84, v149 neg_lo:[1,1,0]
	v_dot4_i32_iu8 v84, v80, v84, v193 neg_lo:[1,1,0]
	s_wait_dscnt 0x16
	v_dot4_i32_iu8 v188, v85, v98, v190 neg_lo:[1,1,0]
	v_dot4_i32_iu8 v190, v85, v99, v191 neg_lo:[1,1,0]
	v_dot4_i32_iu8 v191, v85, v100, v192 neg_lo:[1,1,0]
	v_dot4_i32_iu8 v152, v87, v97, v152 neg_lo:[1,1,0]
	v_dot4_i32_iu8 v153, v87, v98, v153 neg_lo:[1,1,0]
	v_dot4_i32_iu8 v154, v87, v99, v154 neg_lo:[1,1,0]
	v_dot4_i32_iu8 v155, v87, v100, v155 neg_lo:[1,1,0]
	v_dot4_i32_iu8 v156, v88, v97, v156 neg_lo:[1,1,0]
	v_dot4_i32_iu8 v157, v88, v98, v157 neg_lo:[1,1,0]
	v_dot4_i32_iu8 v158, v88, v99, v158 neg_lo:[1,1,0]
	v_dot4_i32_iu8 v159, v88, v100, v159 neg_lo:[1,1,0]
	s_wait_dscnt 0x15
	v_dot4_i32_iu8 v192, v85, v92, v69 neg_lo:[1,1,0]
	v_dot4_i32_iu8 v193, v86, v92, v70 neg_lo:[1,1,0]
	;; [unrolled: 1-line block ×10, first 2 shown]
	ds_load_b128 v[69:72], v36 offset:12800
	v_dot4_i32_iu8 v138, v85, v97, v138 neg_lo:[1,1,0]
	v_dot4_i32_iu8 v189, v86, v97, v189 neg_lo:[1,1,0]
	;; [unrolled: 1-line block ×3, first 2 shown]
	s_wait_dscnt 0x1
	v_dot4_i32_iu8 v172, v65, v97, v172 neg_lo:[1,1,0]
	v_dot4_i32_iu8 v173, v65, v98, v173 neg_lo:[1,1,0]
	;; [unrolled: 1-line block ×8, first 2 shown]
	ds_load_b128 v[79:82], v36 offset:13056
	v_dot4_i32_iu8 v150, v86, v99, v150 neg_lo:[1,1,0]
	v_dot4_i32_iu8 v151, v86, v100, v151 neg_lo:[1,1,0]
	;; [unrolled: 1-line block ×32, first 2 shown]
	ds_load_b128 v[65:68], v36 offset:13312
	ds_load_b128 v[83:86], v36 offset:13568
	v_cmp_gt_i32_e64 s11, s23, v42
	s_wait_dscnt 0x3
	v_dot4_i32_iu8 v138, v69, v93, v138 neg_lo:[1,1,0]
	v_dot4_i32_iu8 v141, v69, v94, v188 neg_lo:[1,1,0]
	;; [unrolled: 1-line block ×32, first 2 shown]
	ds_load_b128 v[69:72], v36 offset:13824
	ds_load_b128 v[87:90], v36 offset:14080
	v_cmp_le_i32_e64 s10, s52, v42
	s_and_b32 s5, s11, s9
	s_wait_dscnt 0x4
	v_dot4_i32_iu8 v172, v79, v93, v172 neg_lo:[1,1,0]
	v_dot4_i32_iu8 v173, v79, v94, v173 neg_lo:[1,1,0]
	v_dot4_i32_iu8 v174, v79, v95, v174 neg_lo:[1,1,0]
	v_dot4_i32_iu8 v175, v79, v96, v175 neg_lo:[1,1,0]
	v_dot4_i32_iu8 v176, v80, v93, v176 neg_lo:[1,1,0]
	v_dot4_i32_iu8 v143, v80, v94, v143 neg_lo:[1,1,0]
	v_dot4_i32_iu8 v144, v80, v95, v144 neg_lo:[1,1,0]
	v_dot4_i32_iu8 v145, v80, v96, v145 neg_lo:[1,1,0]
	v_dot4_i32_iu8 v146, v81, v93, v146 neg_lo:[1,1,0]
	v_dot4_i32_iu8 v147, v81, v94, v147 neg_lo:[1,1,0]
	v_dot4_i32_iu8 v148, v81, v95, v148 neg_lo:[1,1,0]
	v_dot4_i32_iu8 v149, v81, v96, v149 neg_lo:[1,1,0]
	v_dot4_i32_iu8 v97, v82, v93, v97 neg_lo:[1,1,0]
	v_dot4_i32_iu8 v98, v82, v94, v98 neg_lo:[1,1,0]
	v_dot4_i32_iu8 v95, v82, v95, v99 neg_lo:[1,1,0]
	v_dot4_i32_iu8 v96, v82, v96, v100 neg_lo:[1,1,0]
	v_dot4_i32_iu8 v99, v79, v101, v177 neg_lo:[1,1,0]
	v_dot4_i32_iu8 v100, v79, v102, v178 neg_lo:[1,1,0]
	v_dot4_i32_iu8 v177, v79, v103, v179 neg_lo:[1,1,0]
	v_dot4_i32_iu8 v178, v79, v104, v180 neg_lo:[1,1,0]
	v_dot4_i32_iu8 v139, v80, v101, v139 neg_lo:[1,1,0]
	v_dot4_i32_iu8 v179, v80, v102, v181 neg_lo:[1,1,0]
	v_dot4_i32_iu8 v180, v80, v103, v182 neg_lo:[1,1,0]
	v_dot4_i32_iu8 v181, v80, v104, v183 neg_lo:[1,1,0]
	v_dot4_i32_iu8 v140, v81, v101, v140 neg_lo:[1,1,0]
	v_dot4_i32_iu8 v182, v81, v102, v184 neg_lo:[1,1,0]
	v_dot4_i32_iu8 v183, v81, v103, v185 neg_lo:[1,1,0]
	v_dot4_i32_iu8 v184, v81, v104, v186 neg_lo:[1,1,0]
	v_dot4_i32_iu8 v73, v82, v101, v73 neg_lo:[1,1,0]
	v_dot4_i32_iu8 v74, v82, v102, v74 neg_lo:[1,1,0]
	v_dot4_i32_iu8 v101, v82, v103, v91 neg_lo:[1,1,0]
	v_dot4_i32_iu8 v102, v82, v104, v92 neg_lo:[1,1,0]
	ds_load_b128 v[79:82], v36 offset:14336
	ds_load_b128 v[91:94], v36 offset:14592
	s_wait_alu 0xfffe
	s_and_b32 s5, s5, s10
	ds_store_2addr_stride64_b32 v40, v64, v63 offset0:72 offset1:74
	ds_store_2addr_stride64_b32 v40, v62, v61 offset0:76 offset1:78
	s_wait_alu 0xfffe
	s_and_b32 s5, s2, s5
	ds_load_b128 v[61:64], v36 offset:15104
	s_wait_loadcnt 0x0
	s_wait_alu 0xfffe
	v_cndmask_b32_e64 v185, 0, v19, s5
	v_cndmask_b32_e64 v186, 0, v18, s5
	;; [unrolled: 1-line block ×4, first 2 shown]
	ds_load_b128 v[16:19], v36 offset:14848
	s_wait_dscnt 0x9
	v_dot4_i32_iu8 v103, v65, v118, v138 neg_lo:[1,1,0]
	v_dot4_i32_iu8 v104, v65, v119, v141 neg_lo:[1,1,0]
	v_dot4_i32_iu8 v138, v65, v120, v187 neg_lo:[1,1,0]
	v_dot4_i32_iu8 v141, v65, v121, v188 neg_lo:[1,1,0]
	v_dot4_i32_iu8 v187, v66, v118, v189 neg_lo:[1,1,0]
	v_dot4_i32_iu8 v142, v66, v119, v142 neg_lo:[1,1,0]
	v_dot4_i32_iu8 v150, v66, v120, v150 neg_lo:[1,1,0]
	v_dot4_i32_iu8 v151, v66, v121, v151 neg_lo:[1,1,0]
	v_dot4_i32_iu8 v152, v67, v118, v152 neg_lo:[1,1,0]
	v_dot4_i32_iu8 v153, v67, v119, v153 neg_lo:[1,1,0]
	v_dot4_i32_iu8 v154, v67, v120, v154 neg_lo:[1,1,0]
	v_dot4_i32_iu8 v155, v67, v121, v155 neg_lo:[1,1,0]
	v_dot4_i32_iu8 v156, v68, v118, v156 neg_lo:[1,1,0]
	v_dot4_i32_iu8 v157, v68, v119, v157 neg_lo:[1,1,0]
	v_dot4_i32_iu8 v158, v68, v120, v158 neg_lo:[1,1,0]
	v_dot4_i32_iu8 v159, v68, v121, v159 neg_lo:[1,1,0]
	v_dot4_i32_iu8 v160, v65, v110, v160 neg_lo:[1,1,0]
	v_dot4_i32_iu8 v161, v65, v111, v161 neg_lo:[1,1,0]
	v_dot4_i32_iu8 v162, v65, v112, v162 neg_lo:[1,1,0]
	v_dot4_i32_iu8 v65, v65, v113, v190 neg_lo:[1,1,0]
	v_dot4_i32_iu8 v163, v66, v110, v163 neg_lo:[1,1,0]
	v_dot4_i32_iu8 v164, v66, v111, v164 neg_lo:[1,1,0]
	v_dot4_i32_iu8 v165, v66, v112, v165 neg_lo:[1,1,0]
	v_dot4_i32_iu8 v66, v66, v113, v191 neg_lo:[1,1,0]
	v_dot4_i32_iu8 v166, v67, v110, v166 neg_lo:[1,1,0]
	v_dot4_i32_iu8 v167, v67, v111, v167 neg_lo:[1,1,0]
	v_dot4_i32_iu8 v168, v67, v112, v168 neg_lo:[1,1,0]
	v_dot4_i32_iu8 v67, v67, v113, v192 neg_lo:[1,1,0]
	v_dot4_i32_iu8 v169, v68, v110, v169 neg_lo:[1,1,0]
	v_dot4_i32_iu8 v170, v68, v111, v170 neg_lo:[1,1,0]
	v_dot4_i32_iu8 v171, v68, v112, v171 neg_lo:[1,1,0]
	v_dot4_i32_iu8 v68, v68, v113, v193 neg_lo:[1,1,0]
	s_wait_dscnt 0x8
	v_dot4_i32_iu8 v172, v83, v118, v172 neg_lo:[1,1,0]
	v_dot4_i32_iu8 v173, v83, v119, v173 neg_lo:[1,1,0]
	v_dot4_i32_iu8 v174, v83, v120, v174 neg_lo:[1,1,0]
	v_dot4_i32_iu8 v175, v83, v121, v175 neg_lo:[1,1,0]
	v_dot4_i32_iu8 v176, v84, v118, v176 neg_lo:[1,1,0]
	v_dot4_i32_iu8 v143, v84, v119, v143 neg_lo:[1,1,0]
	v_dot4_i32_iu8 v144, v84, v120, v144 neg_lo:[1,1,0]
	v_dot4_i32_iu8 v145, v84, v121, v145 neg_lo:[1,1,0]
	v_dot4_i32_iu8 v146, v85, v118, v146 neg_lo:[1,1,0]
	v_dot4_i32_iu8 v147, v85, v119, v147 neg_lo:[1,1,0]
	v_dot4_i32_iu8 v148, v85, v120, v148 neg_lo:[1,1,0]
	v_dot4_i32_iu8 v149, v85, v121, v149 neg_lo:[1,1,0]
	v_dot4_i32_iu8 v97, v86, v118, v97 neg_lo:[1,1,0]
	v_dot4_i32_iu8 v98, v86, v119, v98 neg_lo:[1,1,0]
	v_dot4_i32_iu8 v95, v86, v120, v95 neg_lo:[1,1,0]
	v_dot4_i32_iu8 v96, v86, v121, v96 neg_lo:[1,1,0]
	v_dot4_i32_iu8 v99, v83, v110, v99 neg_lo:[1,1,0]
	v_dot4_i32_iu8 v100, v83, v111, v100 neg_lo:[1,1,0]
	v_dot4_i32_iu8 v118, v83, v112, v177 neg_lo:[1,1,0]
	v_dot4_i32_iu8 v83, v83, v113, v178 neg_lo:[1,1,0]
	v_dot4_i32_iu8 v119, v84, v110, v139 neg_lo:[1,1,0]
	v_dot4_i32_iu8 v120, v84, v111, v179 neg_lo:[1,1,0]
	v_dot4_i32_iu8 v121, v84, v112, v180 neg_lo:[1,1,0]
	v_dot4_i32_iu8 v84, v84, v113, v181 neg_lo:[1,1,0]
	v_dot4_i32_iu8 v139, v85, v110, v140 neg_lo:[1,1,0]
	v_dot4_i32_iu8 v140, v85, v111, v182 neg_lo:[1,1,0]
	v_dot4_i32_iu8 v177, v85, v112, v183 neg_lo:[1,1,0]
	v_dot4_i32_iu8 v85, v85, v113, v184 neg_lo:[1,1,0]
	v_dot4_i32_iu8 v73, v86, v110, v73 neg_lo:[1,1,0]
	v_dot4_i32_iu8 v74, v86, v111, v74 neg_lo:[1,1,0]
	v_dot4_i32_iu8 v101, v86, v112, v101 neg_lo:[1,1,0]
	v_dot4_i32_iu8 v86, v86, v113, v102 neg_lo:[1,1,0]
	;; [unrolled: 33-line block ×7, first 2 shown]
	v_dot4_i32_iu8 v68, v61, v32, v72 neg_lo:[1,1,0]
	v_dot4_i32_iu8 v72, v61, v33, v82 neg_lo:[1,1,0]
	;; [unrolled: 1-line block ×96, first 2 shown]
	v_add_nc_u32_e32 v47, s42, v47
	v_add_nc_u32_e32 v48, s42, v48
	;; [unrolled: 1-line block ×8, first 2 shown]
	v_dot4_i32_iu8 v104, v75, v8, v64 neg_lo:[1,1,0]
	v_dot4_i32_iu8 v103, v75, v9, v73 neg_lo:[1,1,0]
	;; [unrolled: 1-line block ×64, first 2 shown]
	s_add_co_i32 s59, s59, 32
	s_add_co_i32 s20, s20, s61
	s_wait_alu 0xfffe
	s_cmp_lt_i32 s59, s40
	ds_store_2addr_stride64_b32 v40, v109, v108 offset1:2
	ds_store_2addr_stride64_b32 v40, v107, v106 offset0:4 offset1:6
	ds_store_2addr_stride64_b32 v40, v195, v194 offset0:8 offset1:10
	;; [unrolled: 1-line block ×3, first 2 shown]
	s_cbranch_scc1 .LBB1_1
; %bb.2:
	v_add3_u32 v3, s60, s20, v44
	v_add_nc_u32_e32 v6, s21, v46
	s_load_b64 s[6:7], s[0:1], 0x10
	s_mul_u64 s[0:1], s[18:19], s[50:51]
	v_add3_u32 v4, v44, v105, s20
	v_mul_hi_u32 v0, v3, s57
	v_add_nc_u32_e32 v5, s58, v3
	v_cmp_gt_i32_e64 s3, s53, v3
	s_add_nc_u64 s[12:13], s[46:47], s[0:1]
	v_cmp_gt_i32_e64 s1, s54, v6
	s_wait_dscnt 0x0
	v_mul_hi_u32 v1, v5, s57
	s_barrier_signal -1
	v_add_nc_u32_e32 v0, v3, v0
	s_and_b32 s1, vcc_lo, s1
	s_barrier_wait -1
	ds_load_b128 v[44:47], v37 offset:16384
	ds_load_b128 v[48:51], v37 offset:16640
	ds_load_b128 v[52:55], v36
	ds_load_b128 v[56:59], v36 offset:256
	ds_load_b128 v[105:108], v37 offset:16896
	;; [unrolled: 1-line block ×3, first 2 shown]
	v_lshrrev_b32_e32 v2, s56, v0
	ds_load_b128 v[113:116], v36 offset:512
	ds_load_b128 v[117:120], v36 offset:768
	;; [unrolled: 1-line block ×10, first 2 shown]
	v_mul_lo_u32 v0, v2, s55
	v_sub_nc_u32_e32 v7, v2, v43
	ds_load_b128 v[153:156], v37 offset:18432
	ds_load_b128 v[157:160], v37 offset:18688
	;; [unrolled: 1-line block ×5, first 2 shown]
	v_cmp_gt_i32_e64 s4, s53, v5
	s_mul_u64 s[8:9], s[16:17], s[50:51]
	v_mul_lo_u32 v12, v7, s48
	s_wait_kmcnt 0x0
	s_wait_alu 0xfffe
	s_add_nc_u64 s[20:21], s[6:7], s[8:9]
	v_sub_nc_u32_e32 v0, v3, v0
	v_add_nc_u32_e32 v3, s49, v6
	s_wait_alu 0xfffe
	s_and_b32 s21, s21, 0xffff
	s_and_b32 s13, s13, 0xffff
	s_wait_dscnt 0x11
	v_dot4_i32_iu8 v26, v58, v46, v26 neg_lo:[1,1,0]
	v_dot4_i32_iu8 v25, v58, v47, v25 neg_lo:[1,1,0]
	v_cmp_gt_i32_e64 s0, s54, v3
	v_dot4_i32_iu8 v22, v59, v44, v22 neg_lo:[1,1,0]
	v_dot4_i32_iu8 v27, v56, v51, v27 neg_lo:[1,1,0]
	;; [unrolled: 1-line block ×4, first 2 shown]
	s_and_b32 vcc_lo, vcc_lo, s0
	v_add_nc_u32_e32 v1, v5, v1
	v_dot4_i32_iu8 v21, v57, v50, v21 neg_lo:[1,1,0]
	v_dot4_i32_iu8 v20, v57, v51, v20 neg_lo:[1,1,0]
	v_dot4_i32_iu8 v19, v58, v48, v19 neg_lo:[1,1,0]
	v_dot4_i32_iu8 v18, v58, v49, v18 neg_lo:[1,1,0]
	v_lshrrev_b32_e32 v1, s56, v1
	v_dot4_i32_iu8 v17, v58, v50, v17 neg_lo:[1,1,0]
	v_dot4_i32_iu8 v16, v58, v51, v16 neg_lo:[1,1,0]
	s_wait_dscnt 0xd
	v_dot4_i32_iu8 v26, v119, v107, v26 neg_lo:[1,1,0]
	v_dot4_i32_iu8 v25, v119, v108, v25 neg_lo:[1,1,0]
	v_sub_nc_u32_e32 v7, v1, v2
	v_mad_co_u64_u32 v[1:2], null, v1, s55, v[0:1]
	v_sub_nc_u32_e32 v0, v0, v4
	v_mul_lo_u32 v2, v12, s37
	s_delay_alu instid0(VALU_DEP_4)
	v_mul_lo_u32 v13, v7, s48
	v_dot4_i32_iu8 v22, v120, v105, v22 neg_lo:[1,1,0]
	v_dot4_i32_iu8 v27, v117, v112, v27 neg_lo:[1,1,0]
	v_mul_lo_u32 v0, v0, s38
	v_sub_nc_u32_e32 v1, v5, v1
	v_dot4_i32_iu8 v24, v118, v109, v24 neg_lo:[1,1,0]
	v_dot4_i32_iu8 v23, v118, v110, v23 neg_lo:[1,1,0]
	;; [unrolled: 1-line block ×3, first 2 shown]
	v_mul_lo_u32 v4, v13, s37
	v_mul_lo_u32 v1, v1, s38
	v_dot4_i32_iu8 v20, v118, v112, v20 neg_lo:[1,1,0]
	v_add3_u32 v0, v0, v2, v60
	v_add_nc_u32_e32 v2, v6, v41
	v_dot4_i32_iu8 v19, v119, v109, v19 neg_lo:[1,1,0]
	v_dot4_i32_iu8 v18, v119, v110, v18 neg_lo:[1,1,0]
	;; [unrolled: 1-line block ×4, first 2 shown]
	v_add3_u32 v1, v1, v4, v0
	v_add_nc_u32_e32 v14, s49, v2
	s_clause 0x1
	buffer_load_b128 v[8:11], v0, s[24:27], null offen
	buffer_load_b128 v[173:176], v1, s[24:27], null offen
	s_clause 0x1
	buffer_load_b128 v[4:7], v2, s[28:31], null offen
	buffer_load_b128 v[0:3], v14, s[28:31], null offen
	s_wait_dscnt 0x9
	v_dot4_i32_iu8 v26, v135, v123, v26 neg_lo:[1,1,0]
	v_dot4_i32_iu8 v25, v135, v124, v25 neg_lo:[1,1,0]
	;; [unrolled: 1-line block ×64, first 2 shown]
	s_wait_dscnt 0x5
	v_dot4_i32_iu8 v26, v151, v139, v26 neg_lo:[1,1,0]
	v_dot4_i32_iu8 v25, v151, v140, v25 neg_lo:[1,1,0]
	;; [unrolled: 1-line block ×64, first 2 shown]
	s_wait_dscnt 0x1
	v_dot4_i32_iu8 v89, v167, v155, v26 neg_lo:[1,1,0]
	v_dot4_i32_iu8 v90, v167, v156, v25 neg_lo:[1,1,0]
	;; [unrolled: 1-line block ×3, first 2 shown]
	ds_load_b128 v[16:19], v37 offset:18944
	v_dot4_i32_iu8 v94, v165, v160, v27 neg_lo:[1,1,0]
	v_dot4_i32_iu8 v95, v166, v157, v24 neg_lo:[1,1,0]
	;; [unrolled: 1-line block ×5, first 2 shown]
	ds_load_b128 v[20:23], v37 offset:19200
	ds_load_b128 v[24:27], v36 offset:2816
	v_dot4_i32_iu8 v14, v129, v121, v14 neg_lo:[1,1,0]
	v_dot4_i32_iu8 v15, v129, v122, v15 neg_lo:[1,1,0]
	;; [unrolled: 1-line block ×104, first 2 shown]
	v_add_nc_u32_e32 v12, v12, v42
	v_dot4_i32_iu8 v42, v161, v153, v14 neg_lo:[1,1,0]
	v_dot4_i32_iu8 v88, v161, v154, v15 neg_lo:[1,1,0]
	;; [unrolled: 1-line block ×56, first 2 shown]
	s_wait_dscnt 0x2
	v_dot4_i32_iu8 v42, v169, v16, v42 neg_lo:[1,1,0]
	v_dot4_i32_iu8 v88, v169, v17, v88 neg_lo:[1,1,0]
	;; [unrolled: 1-line block ×16, first 2 shown]
	s_wait_dscnt 0x1
	v_dot4_i32_iu8 v77, v169, v20, v77 neg_lo:[1,1,0]
	v_dot4_i32_iu8 v78, v169, v21, v78 neg_lo:[1,1,0]
	;; [unrolled: 1-line block ×16, first 2 shown]
	ds_load_b128 v[28:31], v36 offset:3072
	s_wait_dscnt 0x1
	v_dot4_i32_iu8 v69, v24, v16, v69 neg_lo:[1,1,0]
	v_dot4_i32_iu8 v68, v24, v17, v68 neg_lo:[1,1,0]
	;; [unrolled: 1-line block ×15, first 2 shown]
	ds_load_b128 v[32:35], v37 offset:19456
	v_dot4_i32_iu8 v46, v27, v19, v46 neg_lo:[1,1,0]
	v_dot4_i32_iu8 v47, v24, v20, v47 neg_lo:[1,1,0]
	;; [unrolled: 1-line block ×15, first 2 shown]
	ds_load_b128 v[16:19], v37 offset:19712
	v_dot4_i32_iu8 v101, v27, v22, v101 neg_lo:[1,1,0]
	v_dot4_i32_iu8 v102, v27, v23, v102 neg_lo:[1,1,0]
	ds_load_b128 v[20:23], v36 offset:3328
	ds_load_b128 v[24:27], v36 offset:3584
	s_wait_dscnt 0x3
	v_dot4_i32_iu8 v42, v28, v32, v42 neg_lo:[1,1,0]
	v_dot4_i32_iu8 v88, v28, v33, v88 neg_lo:[1,1,0]
	;; [unrolled: 1-line block ×16, first 2 shown]
	s_wait_dscnt 0x2
	v_dot4_i32_iu8 v77, v28, v16, v77 neg_lo:[1,1,0]
	v_dot4_i32_iu8 v78, v28, v17, v78 neg_lo:[1,1,0]
	;; [unrolled: 1-line block ×16, first 2 shown]
	s_wait_dscnt 0x1
	v_dot4_i32_iu8 v69, v20, v32, v69 neg_lo:[1,1,0]
	v_dot4_i32_iu8 v68, v20, v33, v68 neg_lo:[1,1,0]
	;; [unrolled: 1-line block ×15, first 2 shown]
	ds_load_b128 v[28:31], v37 offset:19968
	v_dot4_i32_iu8 v46, v23, v35, v46 neg_lo:[1,1,0]
	v_dot4_i32_iu8 v47, v20, v16, v47 neg_lo:[1,1,0]
	;; [unrolled: 1-line block ×15, first 2 shown]
	ds_load_b128 v[32:35], v37 offset:20224
	v_dot4_i32_iu8 v101, v23, v18, v101 neg_lo:[1,1,0]
	v_dot4_i32_iu8 v102, v23, v19, v102 neg_lo:[1,1,0]
	ds_load_b128 v[16:19], v36 offset:3840
	ds_load_b128 v[20:23], v36 offset:4096
	s_wait_dscnt 0x3
	v_dot4_i32_iu8 v42, v24, v28, v42 neg_lo:[1,1,0]
	v_dot4_i32_iu8 v88, v24, v29, v88 neg_lo:[1,1,0]
	;; [unrolled: 1-line block ×16, first 2 shown]
	s_wait_dscnt 0x2
	v_dot4_i32_iu8 v77, v24, v32, v77 neg_lo:[1,1,0]
	v_dot4_i32_iu8 v78, v24, v33, v78 neg_lo:[1,1,0]
	;; [unrolled: 1-line block ×16, first 2 shown]
	s_wait_dscnt 0x1
	v_dot4_i32_iu8 v69, v16, v28, v69 neg_lo:[1,1,0]
	v_dot4_i32_iu8 v68, v16, v29, v68 neg_lo:[1,1,0]
	;; [unrolled: 1-line block ×15, first 2 shown]
	ds_load_b128 v[24:27], v37 offset:20480
	v_dot4_i32_iu8 v46, v19, v31, v46 neg_lo:[1,1,0]
	v_dot4_i32_iu8 v47, v16, v32, v47 neg_lo:[1,1,0]
	;; [unrolled: 1-line block ×15, first 2 shown]
	ds_load_b128 v[28:31], v37 offset:20736
	v_dot4_i32_iu8 v101, v19, v34, v101 neg_lo:[1,1,0]
	v_dot4_i32_iu8 v102, v19, v35, v102 neg_lo:[1,1,0]
	ds_load_b128 v[16:19], v36 offset:4352
	s_wait_dscnt 0x2
	v_dot4_i32_iu8 v42, v20, v24, v42 neg_lo:[1,1,0]
	v_dot4_i32_iu8 v88, v20, v25, v88 neg_lo:[1,1,0]
	;; [unrolled: 1-line block ×16, first 2 shown]
	s_wait_dscnt 0x1
	v_dot4_i32_iu8 v77, v20, v28, v77 neg_lo:[1,1,0]
	v_dot4_i32_iu8 v78, v20, v29, v78 neg_lo:[1,1,0]
	;; [unrolled: 1-line block ×16, first 2 shown]
	ds_load_b128 v[20:23], v36 offset:4608
	s_wait_dscnt 0x1
	v_dot4_i32_iu8 v69, v16, v24, v69 neg_lo:[1,1,0]
	v_dot4_i32_iu8 v68, v16, v25, v68 neg_lo:[1,1,0]
	;; [unrolled: 1-line block ×15, first 2 shown]
	ds_load_b128 v[32:35], v37 offset:20992
	v_dot4_i32_iu8 v46, v19, v27, v46 neg_lo:[1,1,0]
	v_dot4_i32_iu8 v47, v16, v28, v47 neg_lo:[1,1,0]
	;; [unrolled: 1-line block ×15, first 2 shown]
	ds_load_b128 v[24:27], v37 offset:21248
	v_dot4_i32_iu8 v101, v19, v30, v101 neg_lo:[1,1,0]
	v_dot4_i32_iu8 v102, v19, v31, v102 neg_lo:[1,1,0]
	ds_load_b128 v[16:19], v36 offset:4864
	s_wait_dscnt 0x2
	v_dot4_i32_iu8 v42, v20, v32, v42 neg_lo:[1,1,0]
	v_dot4_i32_iu8 v88, v20, v33, v88 neg_lo:[1,1,0]
	;; [unrolled: 1-line block ×16, first 2 shown]
	s_wait_dscnt 0x1
	v_dot4_i32_iu8 v77, v20, v24, v77 neg_lo:[1,1,0]
	v_dot4_i32_iu8 v78, v20, v25, v78 neg_lo:[1,1,0]
	;; [unrolled: 1-line block ×16, first 2 shown]
	ds_load_b128 v[20:23], v36 offset:5120
	s_wait_dscnt 0x1
	v_dot4_i32_iu8 v69, v16, v32, v69 neg_lo:[1,1,0]
	v_dot4_i32_iu8 v68, v16, v33, v68 neg_lo:[1,1,0]
	v_dot4_i32_iu8 v67, v16, v34, v67 neg_lo:[1,1,0]
	v_dot4_i32_iu8 v66, v16, v35, v66 neg_lo:[1,1,0]
	v_dot4_i32_iu8 v65, v17, v32, v65 neg_lo:[1,1,0]
	v_dot4_i32_iu8 v64, v17, v33, v64 neg_lo:[1,1,0]
	v_dot4_i32_iu8 v63, v17, v34, v63 neg_lo:[1,1,0]
	v_dot4_i32_iu8 v62, v17, v35, v62 neg_lo:[1,1,0]
	v_dot4_i32_iu8 v103, v18, v32, v103 neg_lo:[1,1,0]
	v_dot4_i32_iu8 v104, v18, v33, v104 neg_lo:[1,1,0]
	v_dot4_i32_iu8 v89, v18, v34, v89 neg_lo:[1,1,0]
	v_dot4_i32_iu8 v90, v18, v35, v90 neg_lo:[1,1,0]
	v_dot4_i32_iu8 v91, v19, v32, v91 neg_lo:[1,1,0]
	v_dot4_i32_iu8 v44, v19, v33, v44 neg_lo:[1,1,0]
	v_dot4_i32_iu8 v45, v19, v34, v45 neg_lo:[1,1,0]
	ds_load_b128 v[28:31], v37 offset:21504
	v_dot4_i32_iu8 v46, v19, v35, v46 neg_lo:[1,1,0]
	v_dot4_i32_iu8 v47, v16, v24, v47 neg_lo:[1,1,0]
	;; [unrolled: 1-line block ×15, first 2 shown]
	ds_load_b128 v[32:35], v37 offset:21760
	v_dot4_i32_iu8 v101, v19, v26, v101 neg_lo:[1,1,0]
	v_dot4_i32_iu8 v102, v19, v27, v102 neg_lo:[1,1,0]
	ds_load_b128 v[16:19], v36 offset:5376
	s_wait_dscnt 0x2
	v_dot4_i32_iu8 v42, v20, v28, v42 neg_lo:[1,1,0]
	v_dot4_i32_iu8 v88, v20, v29, v88 neg_lo:[1,1,0]
	;; [unrolled: 1-line block ×16, first 2 shown]
	s_wait_dscnt 0x1
	v_dot4_i32_iu8 v77, v20, v32, v77 neg_lo:[1,1,0]
	v_dot4_i32_iu8 v78, v20, v33, v78 neg_lo:[1,1,0]
	;; [unrolled: 1-line block ×16, first 2 shown]
	ds_load_b128 v[20:23], v36 offset:5632
	s_wait_dscnt 0x1
	v_dot4_i32_iu8 v69, v16, v28, v69 neg_lo:[1,1,0]
	v_dot4_i32_iu8 v68, v16, v29, v68 neg_lo:[1,1,0]
	v_dot4_i32_iu8 v67, v16, v30, v67 neg_lo:[1,1,0]
	v_dot4_i32_iu8 v66, v16, v31, v66 neg_lo:[1,1,0]
	v_dot4_i32_iu8 v65, v17, v28, v65 neg_lo:[1,1,0]
	v_dot4_i32_iu8 v64, v17, v29, v64 neg_lo:[1,1,0]
	v_dot4_i32_iu8 v63, v17, v30, v63 neg_lo:[1,1,0]
	v_dot4_i32_iu8 v62, v17, v31, v62 neg_lo:[1,1,0]
	v_dot4_i32_iu8 v103, v18, v28, v103 neg_lo:[1,1,0]
	v_dot4_i32_iu8 v104, v18, v29, v104 neg_lo:[1,1,0]
	v_dot4_i32_iu8 v89, v18, v30, v89 neg_lo:[1,1,0]
	v_dot4_i32_iu8 v90, v18, v31, v90 neg_lo:[1,1,0]
	v_dot4_i32_iu8 v91, v19, v28, v91 neg_lo:[1,1,0]
	v_dot4_i32_iu8 v44, v19, v29, v44 neg_lo:[1,1,0]
	v_dot4_i32_iu8 v45, v19, v30, v45 neg_lo:[1,1,0]
	ds_load_b128 v[24:27], v37 offset:22016
	v_dot4_i32_iu8 v46, v19, v31, v46 neg_lo:[1,1,0]
	v_dot4_i32_iu8 v47, v16, v32, v47 neg_lo:[1,1,0]
	;; [unrolled: 1-line block ×15, first 2 shown]
	ds_load_b128 v[28:31], v37 offset:22272
	v_dot4_i32_iu8 v101, v19, v34, v101 neg_lo:[1,1,0]
	v_dot4_i32_iu8 v102, v19, v35, v102 neg_lo:[1,1,0]
	ds_load_b128 v[16:19], v36 offset:5888
	s_wait_dscnt 0x2
	v_dot4_i32_iu8 v42, v20, v24, v42 neg_lo:[1,1,0]
	v_dot4_i32_iu8 v88, v20, v25, v88 neg_lo:[1,1,0]
	v_dot4_i32_iu8 v41, v20, v26, v41 neg_lo:[1,1,0]
	v_dot4_i32_iu8 v43, v20, v27, v43 neg_lo:[1,1,0]
	v_dot4_i32_iu8 v48, v21, v24, v48 neg_lo:[1,1,0]
	v_dot4_i32_iu8 v49, v21, v25, v49 neg_lo:[1,1,0]
	v_dot4_i32_iu8 v50, v21, v26, v50 neg_lo:[1,1,0]
	v_dot4_i32_iu8 v51, v21, v27, v51 neg_lo:[1,1,0]
	v_dot4_i32_iu8 v56, v22, v24, v56 neg_lo:[1,1,0]
	v_dot4_i32_iu8 v57, v22, v25, v57 neg_lo:[1,1,0]
	v_dot4_i32_iu8 v58, v22, v26, v58 neg_lo:[1,1,0]
	v_dot4_i32_iu8 v59, v22, v27, v59 neg_lo:[1,1,0]
	v_dot4_i32_iu8 v60, v23, v24, v60 neg_lo:[1,1,0]
	v_dot4_i32_iu8 v61, v23, v25, v61 neg_lo:[1,1,0]
	v_dot4_i32_iu8 v70, v23, v26, v70 neg_lo:[1,1,0]
	v_dot4_i32_iu8 v74, v23, v27, v74 neg_lo:[1,1,0]
	s_wait_dscnt 0x1
	v_dot4_i32_iu8 v77, v20, v28, v77 neg_lo:[1,1,0]
	v_dot4_i32_iu8 v78, v20, v29, v78 neg_lo:[1,1,0]
	;; [unrolled: 1-line block ×16, first 2 shown]
	ds_load_b128 v[20:23], v36 offset:6144
	s_wait_dscnt 0x1
	v_dot4_i32_iu8 v69, v16, v24, v69 neg_lo:[1,1,0]
	v_dot4_i32_iu8 v68, v16, v25, v68 neg_lo:[1,1,0]
	;; [unrolled: 1-line block ×15, first 2 shown]
	ds_load_b128 v[32:35], v37 offset:22528
	v_dot4_i32_iu8 v46, v19, v27, v46 neg_lo:[1,1,0]
	v_dot4_i32_iu8 v47, v16, v28, v47 neg_lo:[1,1,0]
	;; [unrolled: 1-line block ×15, first 2 shown]
	ds_load_b128 v[24:27], v37 offset:22784
	v_dot4_i32_iu8 v101, v19, v30, v101 neg_lo:[1,1,0]
	v_dot4_i32_iu8 v102, v19, v31, v102 neg_lo:[1,1,0]
	ds_load_b128 v[16:19], v36 offset:6400
	s_wait_dscnt 0x2
	v_dot4_i32_iu8 v42, v20, v32, v42 neg_lo:[1,1,0]
	v_dot4_i32_iu8 v88, v20, v33, v88 neg_lo:[1,1,0]
	;; [unrolled: 1-line block ×16, first 2 shown]
	s_wait_dscnt 0x1
	v_dot4_i32_iu8 v77, v20, v24, v77 neg_lo:[1,1,0]
	v_dot4_i32_iu8 v78, v20, v25, v78 neg_lo:[1,1,0]
	;; [unrolled: 1-line block ×16, first 2 shown]
	ds_load_b128 v[20:23], v36 offset:6656
	s_wait_dscnt 0x1
	v_dot4_i32_iu8 v69, v16, v32, v69 neg_lo:[1,1,0]
	v_dot4_i32_iu8 v68, v16, v33, v68 neg_lo:[1,1,0]
	;; [unrolled: 1-line block ×15, first 2 shown]
	ds_load_b128 v[28:31], v37 offset:23040
	v_dot4_i32_iu8 v46, v19, v35, v46 neg_lo:[1,1,0]
	v_dot4_i32_iu8 v47, v16, v24, v47 neg_lo:[1,1,0]
	;; [unrolled: 1-line block ×15, first 2 shown]
	ds_load_b128 v[32:35], v37 offset:23296
	v_dot4_i32_iu8 v101, v19, v26, v101 neg_lo:[1,1,0]
	v_dot4_i32_iu8 v102, v19, v27, v102 neg_lo:[1,1,0]
	ds_load_b128 v[16:19], v36 offset:6912
	s_wait_dscnt 0x2
	v_dot4_i32_iu8 v42, v20, v28, v42 neg_lo:[1,1,0]
	v_dot4_i32_iu8 v88, v20, v29, v88 neg_lo:[1,1,0]
	;; [unrolled: 1-line block ×16, first 2 shown]
	s_wait_dscnt 0x1
	v_dot4_i32_iu8 v77, v20, v32, v77 neg_lo:[1,1,0]
	v_dot4_i32_iu8 v78, v20, v33, v78 neg_lo:[1,1,0]
	;; [unrolled: 1-line block ×16, first 2 shown]
	ds_load_b128 v[20:23], v36 offset:7168
	s_wait_dscnt 0x1
	v_dot4_i32_iu8 v69, v16, v28, v69 neg_lo:[1,1,0]
	v_dot4_i32_iu8 v68, v16, v29, v68 neg_lo:[1,1,0]
	v_dot4_i32_iu8 v67, v16, v30, v67 neg_lo:[1,1,0]
	v_dot4_i32_iu8 v66, v16, v31, v66 neg_lo:[1,1,0]
	v_dot4_i32_iu8 v65, v17, v28, v65 neg_lo:[1,1,0]
	v_dot4_i32_iu8 v64, v17, v29, v64 neg_lo:[1,1,0]
	v_dot4_i32_iu8 v63, v17, v30, v63 neg_lo:[1,1,0]
	v_dot4_i32_iu8 v62, v17, v31, v62 neg_lo:[1,1,0]
	v_dot4_i32_iu8 v103, v18, v28, v103 neg_lo:[1,1,0]
	v_dot4_i32_iu8 v104, v18, v29, v104 neg_lo:[1,1,0]
	v_dot4_i32_iu8 v89, v18, v30, v89 neg_lo:[1,1,0]
	v_dot4_i32_iu8 v90, v18, v31, v90 neg_lo:[1,1,0]
	v_dot4_i32_iu8 v91, v19, v28, v91 neg_lo:[1,1,0]
	v_dot4_i32_iu8 v44, v19, v29, v44 neg_lo:[1,1,0]
	v_dot4_i32_iu8 v45, v19, v30, v45 neg_lo:[1,1,0]
	ds_load_b128 v[24:27], v37 offset:23552
	v_dot4_i32_iu8 v46, v19, v31, v46 neg_lo:[1,1,0]
	v_dot4_i32_iu8 v47, v16, v32, v47 neg_lo:[1,1,0]
	;; [unrolled: 1-line block ×15, first 2 shown]
	ds_load_b128 v[28:31], v37 offset:23808
	v_dot4_i32_iu8 v101, v19, v34, v101 neg_lo:[1,1,0]
	v_dot4_i32_iu8 v102, v19, v35, v102 neg_lo:[1,1,0]
	ds_load_b128 v[16:19], v36 offset:7424
	v_add_nc_u32_e32 v13, v13, v12
	v_cmp_gt_i32_e64 s6, s23, v12
	v_cmp_le_i32_e64 s8, s52, v12
	s_wait_dscnt 0x2
	v_dot4_i32_iu8 v42, v20, v24, v42 neg_lo:[1,1,0]
	v_dot4_i32_iu8 v88, v20, v25, v88 neg_lo:[1,1,0]
	v_cmp_gt_i32_e64 s5, s23, v13
	v_cmp_le_i32_e64 s7, s52, v13
	s_and_b32 s3, s6, s3
	v_dot4_i32_iu8 v41, v20, v26, v41 neg_lo:[1,1,0]
	v_dot4_i32_iu8 v43, v20, v27, v43 neg_lo:[1,1,0]
	s_and_b32 s4, s5, s4
	v_dot4_i32_iu8 v48, v21, v24, v48 neg_lo:[1,1,0]
	s_wait_alu 0xfffe
	s_and_b32 s5, s4, s7
	s_and_b32 s4, s3, s8
	s_wait_alu 0xfffe
	s_and_b32 s3, s2, s5
	s_and_b32 s2, s2, s4
	s_wait_loadcnt 0x2
	s_wait_alu 0xfffe
	v_cndmask_b32_e64 v12, 0, v176, s3
	v_cndmask_b32_e64 v13, 0, v175, s3
	v_dot4_i32_iu8 v49, v21, v25, v49 neg_lo:[1,1,0]
	v_dot4_i32_iu8 v50, v21, v26, v50 neg_lo:[1,1,0]
	;; [unrolled: 1-line block ×11, first 2 shown]
	s_wait_dscnt 0x1
	v_dot4_i32_iu8 v77, v20, v28, v77 neg_lo:[1,1,0]
	v_dot4_i32_iu8 v78, v20, v29, v78 neg_lo:[1,1,0]
	;; [unrolled: 1-line block ×16, first 2 shown]
	ds_load_b128 v[20:23], v36 offset:7680
	s_wait_dscnt 0x1
	v_dot4_i32_iu8 v69, v16, v24, v69 neg_lo:[1,1,0]
	v_dot4_i32_iu8 v68, v16, v25, v68 neg_lo:[1,1,0]
	;; [unrolled: 1-line block ×15, first 2 shown]
	ds_load_b128 v[32:35], v37 offset:24064
	v_dot4_i32_iu8 v46, v19, v27, v46 neg_lo:[1,1,0]
	v_dot4_i32_iu8 v47, v16, v28, v47 neg_lo:[1,1,0]
	;; [unrolled: 1-line block ×15, first 2 shown]
	ds_load_b128 v[24:27], v37 offset:24320
	v_dot4_i32_iu8 v30, v19, v30, v101 neg_lo:[1,1,0]
	v_dot4_i32_iu8 v31, v19, v31, v102 neg_lo:[1,1,0]
	ds_load_b128 v[16:19], v36 offset:7936
	v_cndmask_b32_e64 v9, 0, v9, s2
	v_cndmask_b32_e64 v8, 0, v8, s2
	;; [unrolled: 1-line block ×4, first 2 shown]
	s_wait_loadcnt 0x1
	v_cndmask_b32_e64 v5, 0, v5, s1
	v_cndmask_b32_e64 v4, 0, v4, s1
	;; [unrolled: 1-line block ×6, first 2 shown]
	s_wait_loadcnt 0x0
	v_dual_cndmask_b32 v1, 0, v1 :: v_dual_cndmask_b32 v0, 0, v0
	v_dual_cndmask_b32 v3, 0, v3 :: v_dual_cndmask_b32 v2, 0, v2
	ds_store_2addr_stride64_b32 v40, v8, v9 offset0:32 offset1:34
	ds_store_2addr_stride64_b32 v40, v10, v11 offset0:36 offset1:38
	;; [unrolled: 1-line block ×8, first 2 shown]
	s_wait_dscnt 0x0
	s_barrier_signal -1
	s_barrier_wait -1
	ds_load_b128 v[0:3], v36 offset:8192
	ds_load_b128 v[4:7], v37 offset:24576
	;; [unrolled: 1-line block ×4, first 2 shown]
	v_dot4_i32_iu8 v42, v20, v32, v42 neg_lo:[1,1,0]
	v_dot4_i32_iu8 v88, v20, v33, v88 neg_lo:[1,1,0]
	;; [unrolled: 1-line block ×64, first 2 shown]
	s_wait_dscnt 0x2
	v_dot4_i32_iu8 v28, v0, v4, v42 neg_lo:[1,1,0]
	v_dot4_i32_iu8 v29, v0, v5, v88 neg_lo:[1,1,0]
	;; [unrolled: 1-line block ×16, first 2 shown]
	ds_load_b128 v[16:19], v37 offset:25088
	s_wait_dscnt 0x2
	v_dot4_i32_iu8 v61, v0, v8, v77 neg_lo:[1,1,0]
	v_dot4_i32_iu8 v70, v0, v9, v78 neg_lo:[1,1,0]
	;; [unrolled: 1-line block ×16, first 2 shown]
	ds_load_b128 v[0:3], v36 offset:8704
	s_wait_dscnt 0x2
	v_dot4_i32_iu8 v55, v12, v4, v55 neg_lo:[1,1,0]
	v_dot4_i32_iu8 v68, v12, v5, v68 neg_lo:[1,1,0]
	;; [unrolled: 1-line block ×30, first 2 shown]
	ds_load_b128 v[4:7], v37 offset:25344
	v_dot4_i32_iu8 v26, v15, v10, v26 neg_lo:[1,1,0]
	v_dot4_i32_iu8 v27, v15, v11, v27 neg_lo:[1,1,0]
	ds_load_b128 v[8:11], v36 offset:8960
	s_wait_dscnt 0x2
	v_dot4_i32_iu8 v28, v0, v16, v28 neg_lo:[1,1,0]
	v_dot4_i32_iu8 v29, v0, v17, v29 neg_lo:[1,1,0]
	v_dot4_i32_iu8 v30, v0, v18, v30 neg_lo:[1,1,0]
	v_dot4_i32_iu8 v31, v0, v19, v31 neg_lo:[1,1,0]
	v_dot4_i32_iu8 v41, v1, v16, v41 neg_lo:[1,1,0]
	v_dot4_i32_iu8 v42, v1, v17, v42 neg_lo:[1,1,0]
	v_dot4_i32_iu8 v43, v1, v18, v43 neg_lo:[1,1,0]
	v_dot4_i32_iu8 v48, v1, v19, v48 neg_lo:[1,1,0]
	v_dot4_i32_iu8 v49, v2, v16, v49 neg_lo:[1,1,0]
	v_dot4_i32_iu8 v50, v2, v17, v50 neg_lo:[1,1,0]
	v_dot4_i32_iu8 v51, v2, v18, v51 neg_lo:[1,1,0]
	v_dot4_i32_iu8 v56, v2, v19, v56 neg_lo:[1,1,0]
	v_dot4_i32_iu8 v57, v3, v16, v57 neg_lo:[1,1,0]
	v_dot4_i32_iu8 v58, v3, v17, v58 neg_lo:[1,1,0]
	v_dot4_i32_iu8 v59, v3, v18, v59 neg_lo:[1,1,0]
	v_dot4_i32_iu8 v60, v3, v19, v60 neg_lo:[1,1,0]
	ds_load_b128 v[12:15], v37 offset:25600
	s_wait_dscnt 0x2
	v_dot4_i32_iu8 v61, v0, v4, v61 neg_lo:[1,1,0]
	v_dot4_i32_iu8 v70, v0, v5, v70 neg_lo:[1,1,0]
	v_dot4_i32_iu8 v74, v0, v6, v74 neg_lo:[1,1,0]
	v_dot4_i32_iu8 v20, v0, v7, v20 neg_lo:[1,1,0]
	v_dot4_i32_iu8 v52, v1, v4, v52 neg_lo:[1,1,0]
	v_dot4_i32_iu8 v77, v1, v5, v77 neg_lo:[1,1,0]
	v_dot4_i32_iu8 v78, v1, v6, v78 neg_lo:[1,1,0]
	v_dot4_i32_iu8 v21, v1, v7, v21 neg_lo:[1,1,0]
	v_dot4_i32_iu8 v53, v2, v4, v53 neg_lo:[1,1,0]
	v_dot4_i32_iu8 v76, v2, v5, v76 neg_lo:[1,1,0]
	v_dot4_i32_iu8 v75, v2, v6, v75 neg_lo:[1,1,0]
	v_dot4_i32_iu8 v22, v2, v7, v22 neg_lo:[1,1,0]
	v_dot4_i32_iu8 v54, v3, v4, v54 neg_lo:[1,1,0]
	v_dot4_i32_iu8 v72, v3, v5, v72 neg_lo:[1,1,0]
	;; [unrolled: 18-line block ×3, first 2 shown]
	v_dot4_i32_iu8 v34, v11, v18, v34 neg_lo:[1,1,0]
	v_dot4_i32_iu8 v35, v11, v19, v35 neg_lo:[1,1,0]
	;; [unrolled: 1-line block ×16, first 2 shown]
	ds_load_b128 v[16:19], v37 offset:25856
	v_dot4_i32_iu8 v26, v11, v6, v26 neg_lo:[1,1,0]
	v_dot4_i32_iu8 v27, v11, v7, v27 neg_lo:[1,1,0]
	ds_load_b128 v[4:7], v36 offset:9472
	s_wait_dscnt 0x2
	v_dot4_i32_iu8 v28, v0, v12, v28 neg_lo:[1,1,0]
	v_dot4_i32_iu8 v29, v0, v13, v29 neg_lo:[1,1,0]
	v_dot4_i32_iu8 v30, v0, v14, v30 neg_lo:[1,1,0]
	v_dot4_i32_iu8 v31, v0, v15, v31 neg_lo:[1,1,0]
	v_dot4_i32_iu8 v41, v1, v12, v41 neg_lo:[1,1,0]
	v_dot4_i32_iu8 v42, v1, v13, v42 neg_lo:[1,1,0]
	v_dot4_i32_iu8 v43, v1, v14, v43 neg_lo:[1,1,0]
	v_dot4_i32_iu8 v48, v1, v15, v48 neg_lo:[1,1,0]
	v_dot4_i32_iu8 v49, v2, v12, v49 neg_lo:[1,1,0]
	v_dot4_i32_iu8 v50, v2, v13, v50 neg_lo:[1,1,0]
	v_dot4_i32_iu8 v51, v2, v14, v51 neg_lo:[1,1,0]
	v_dot4_i32_iu8 v56, v2, v15, v56 neg_lo:[1,1,0]
	v_dot4_i32_iu8 v57, v3, v12, v57 neg_lo:[1,1,0]
	v_dot4_i32_iu8 v58, v3, v13, v58 neg_lo:[1,1,0]
	v_dot4_i32_iu8 v59, v3, v14, v59 neg_lo:[1,1,0]
	v_dot4_i32_iu8 v60, v3, v15, v60 neg_lo:[1,1,0]
	ds_load_b128 v[8:11], v37 offset:26112
	s_wait_dscnt 0x2
	v_dot4_i32_iu8 v61, v0, v16, v61 neg_lo:[1,1,0]
	v_dot4_i32_iu8 v70, v0, v17, v70 neg_lo:[1,1,0]
	v_dot4_i32_iu8 v74, v0, v18, v74 neg_lo:[1,1,0]
	v_dot4_i32_iu8 v20, v0, v19, v20 neg_lo:[1,1,0]
	v_dot4_i32_iu8 v52, v1, v16, v52 neg_lo:[1,1,0]
	v_dot4_i32_iu8 v77, v1, v17, v77 neg_lo:[1,1,0]
	v_dot4_i32_iu8 v78, v1, v18, v78 neg_lo:[1,1,0]
	v_dot4_i32_iu8 v21, v1, v19, v21 neg_lo:[1,1,0]
	v_dot4_i32_iu8 v53, v2, v16, v53 neg_lo:[1,1,0]
	v_dot4_i32_iu8 v76, v2, v17, v76 neg_lo:[1,1,0]
	v_dot4_i32_iu8 v75, v2, v18, v75 neg_lo:[1,1,0]
	v_dot4_i32_iu8 v22, v2, v19, v22 neg_lo:[1,1,0]
	v_dot4_i32_iu8 v54, v3, v16, v54 neg_lo:[1,1,0]
	v_dot4_i32_iu8 v72, v3, v17, v72 neg_lo:[1,1,0]
	;; [unrolled: 18-line block ×3, first 2 shown]
	v_dot4_i32_iu8 v34, v7, v14, v34 neg_lo:[1,1,0]
	v_dot4_i32_iu8 v35, v7, v15, v35 neg_lo:[1,1,0]
	;; [unrolled: 1-line block ×16, first 2 shown]
	ds_load_b128 v[12:15], v37 offset:26368
	v_dot4_i32_iu8 v26, v7, v18, v26 neg_lo:[1,1,0]
	v_dot4_i32_iu8 v27, v7, v19, v27 neg_lo:[1,1,0]
	ds_load_b128 v[4:7], v36 offset:9984
	s_wait_dscnt 0x2
	v_dot4_i32_iu8 v28, v0, v8, v28 neg_lo:[1,1,0]
	v_dot4_i32_iu8 v29, v0, v9, v29 neg_lo:[1,1,0]
	v_dot4_i32_iu8 v30, v0, v10, v30 neg_lo:[1,1,0]
	v_dot4_i32_iu8 v31, v0, v11, v31 neg_lo:[1,1,0]
	v_dot4_i32_iu8 v41, v1, v8, v41 neg_lo:[1,1,0]
	v_dot4_i32_iu8 v42, v1, v9, v42 neg_lo:[1,1,0]
	v_dot4_i32_iu8 v43, v1, v10, v43 neg_lo:[1,1,0]
	v_dot4_i32_iu8 v48, v1, v11, v48 neg_lo:[1,1,0]
	v_dot4_i32_iu8 v49, v2, v8, v49 neg_lo:[1,1,0]
	v_dot4_i32_iu8 v50, v2, v9, v50 neg_lo:[1,1,0]
	v_dot4_i32_iu8 v51, v2, v10, v51 neg_lo:[1,1,0]
	v_dot4_i32_iu8 v56, v2, v11, v56 neg_lo:[1,1,0]
	v_dot4_i32_iu8 v57, v3, v8, v57 neg_lo:[1,1,0]
	v_dot4_i32_iu8 v58, v3, v9, v58 neg_lo:[1,1,0]
	v_dot4_i32_iu8 v59, v3, v10, v59 neg_lo:[1,1,0]
	v_dot4_i32_iu8 v60, v3, v11, v60 neg_lo:[1,1,0]
	ds_load_b128 v[16:19], v37 offset:26624
	s_wait_dscnt 0x2
	v_dot4_i32_iu8 v61, v0, v12, v61 neg_lo:[1,1,0]
	v_dot4_i32_iu8 v70, v0, v13, v70 neg_lo:[1,1,0]
	v_dot4_i32_iu8 v74, v0, v14, v74 neg_lo:[1,1,0]
	v_dot4_i32_iu8 v20, v0, v15, v20 neg_lo:[1,1,0]
	v_dot4_i32_iu8 v52, v1, v12, v52 neg_lo:[1,1,0]
	v_dot4_i32_iu8 v77, v1, v13, v77 neg_lo:[1,1,0]
	v_dot4_i32_iu8 v78, v1, v14, v78 neg_lo:[1,1,0]
	v_dot4_i32_iu8 v21, v1, v15, v21 neg_lo:[1,1,0]
	v_dot4_i32_iu8 v53, v2, v12, v53 neg_lo:[1,1,0]
	v_dot4_i32_iu8 v76, v2, v13, v76 neg_lo:[1,1,0]
	v_dot4_i32_iu8 v75, v2, v14, v75 neg_lo:[1,1,0]
	v_dot4_i32_iu8 v22, v2, v15, v22 neg_lo:[1,1,0]
	v_dot4_i32_iu8 v54, v3, v12, v54 neg_lo:[1,1,0]
	v_dot4_i32_iu8 v72, v3, v13, v72 neg_lo:[1,1,0]
	;; [unrolled: 18-line block ×3, first 2 shown]
	v_dot4_i32_iu8 v34, v7, v10, v34 neg_lo:[1,1,0]
	v_dot4_i32_iu8 v35, v7, v11, v35 neg_lo:[1,1,0]
	;; [unrolled: 1-line block ×16, first 2 shown]
	ds_load_b128 v[8:11], v37 offset:26880
	v_dot4_i32_iu8 v26, v7, v14, v26 neg_lo:[1,1,0]
	v_dot4_i32_iu8 v27, v7, v15, v27 neg_lo:[1,1,0]
	ds_load_b128 v[4:7], v36 offset:10496
	s_wait_dscnt 0x2
	v_dot4_i32_iu8 v28, v0, v16, v28 neg_lo:[1,1,0]
	v_dot4_i32_iu8 v29, v0, v17, v29 neg_lo:[1,1,0]
	v_dot4_i32_iu8 v30, v0, v18, v30 neg_lo:[1,1,0]
	v_dot4_i32_iu8 v31, v0, v19, v31 neg_lo:[1,1,0]
	v_dot4_i32_iu8 v41, v1, v16, v41 neg_lo:[1,1,0]
	v_dot4_i32_iu8 v42, v1, v17, v42 neg_lo:[1,1,0]
	v_dot4_i32_iu8 v43, v1, v18, v43 neg_lo:[1,1,0]
	v_dot4_i32_iu8 v48, v1, v19, v48 neg_lo:[1,1,0]
	v_dot4_i32_iu8 v49, v2, v16, v49 neg_lo:[1,1,0]
	v_dot4_i32_iu8 v50, v2, v17, v50 neg_lo:[1,1,0]
	v_dot4_i32_iu8 v51, v2, v18, v51 neg_lo:[1,1,0]
	v_dot4_i32_iu8 v56, v2, v19, v56 neg_lo:[1,1,0]
	v_dot4_i32_iu8 v57, v3, v16, v57 neg_lo:[1,1,0]
	v_dot4_i32_iu8 v58, v3, v17, v58 neg_lo:[1,1,0]
	v_dot4_i32_iu8 v59, v3, v18, v59 neg_lo:[1,1,0]
	v_dot4_i32_iu8 v60, v3, v19, v60 neg_lo:[1,1,0]
	ds_load_b128 v[12:15], v37 offset:27136
	s_wait_dscnt 0x2
	v_dot4_i32_iu8 v61, v0, v8, v61 neg_lo:[1,1,0]
	v_dot4_i32_iu8 v70, v0, v9, v70 neg_lo:[1,1,0]
	v_dot4_i32_iu8 v74, v0, v10, v74 neg_lo:[1,1,0]
	v_dot4_i32_iu8 v20, v0, v11, v20 neg_lo:[1,1,0]
	v_dot4_i32_iu8 v52, v1, v8, v52 neg_lo:[1,1,0]
	v_dot4_i32_iu8 v77, v1, v9, v77 neg_lo:[1,1,0]
	v_dot4_i32_iu8 v78, v1, v10, v78 neg_lo:[1,1,0]
	v_dot4_i32_iu8 v21, v1, v11, v21 neg_lo:[1,1,0]
	v_dot4_i32_iu8 v53, v2, v8, v53 neg_lo:[1,1,0]
	v_dot4_i32_iu8 v76, v2, v9, v76 neg_lo:[1,1,0]
	v_dot4_i32_iu8 v75, v2, v10, v75 neg_lo:[1,1,0]
	v_dot4_i32_iu8 v22, v2, v11, v22 neg_lo:[1,1,0]
	v_dot4_i32_iu8 v54, v3, v8, v54 neg_lo:[1,1,0]
	v_dot4_i32_iu8 v72, v3, v9, v72 neg_lo:[1,1,0]
	;; [unrolled: 18-line block ×3, first 2 shown]
	v_dot4_i32_iu8 v34, v7, v18, v34 neg_lo:[1,1,0]
	v_dot4_i32_iu8 v35, v7, v19, v35 neg_lo:[1,1,0]
	v_dot4_i32_iu8 v40, v4, v8, v40 neg_lo:[1,1,0]
	v_dot4_i32_iu8 v44, v4, v9, v44 neg_lo:[1,1,0]
	v_dot4_i32_iu8 v45, v4, v10, v45 neg_lo:[1,1,0]
	v_dot4_i32_iu8 v46, v4, v11, v46 neg_lo:[1,1,0]
	v_dot4_i32_iu8 v47, v5, v8, v47 neg_lo:[1,1,0]
	v_dot4_i32_iu8 v81, v5, v9, v81 neg_lo:[1,1,0]
	v_dot4_i32_iu8 v82, v5, v10, v82 neg_lo:[1,1,0]
	v_dot4_i32_iu8 v83, v5, v11, v83 neg_lo:[1,1,0]
	v_dot4_i32_iu8 v84, v6, v8, v84 neg_lo:[1,1,0]
	v_dot4_i32_iu8 v85, v6, v9, v85 neg_lo:[1,1,0]
	v_dot4_i32_iu8 v86, v6, v10, v86 neg_lo:[1,1,0]
	v_dot4_i32_iu8 v87, v6, v11, v87 neg_lo:[1,1,0]
	v_dot4_i32_iu8 v24, v7, v8, v24 neg_lo:[1,1,0]
	v_dot4_i32_iu8 v25, v7, v9, v25 neg_lo:[1,1,0]
	ds_load_b128 v[16:19], v37 offset:27392
	v_dot4_i32_iu8 v26, v7, v10, v26 neg_lo:[1,1,0]
	v_dot4_i32_iu8 v27, v7, v11, v27 neg_lo:[1,1,0]
	ds_load_b128 v[4:7], v36 offset:11008
	s_wait_dscnt 0x2
	v_dot4_i32_iu8 v28, v0, v12, v28 neg_lo:[1,1,0]
	v_dot4_i32_iu8 v29, v0, v13, v29 neg_lo:[1,1,0]
	v_dot4_i32_iu8 v30, v0, v14, v30 neg_lo:[1,1,0]
	v_dot4_i32_iu8 v31, v0, v15, v31 neg_lo:[1,1,0]
	v_dot4_i32_iu8 v41, v1, v12, v41 neg_lo:[1,1,0]
	v_dot4_i32_iu8 v42, v1, v13, v42 neg_lo:[1,1,0]
	v_dot4_i32_iu8 v43, v1, v14, v43 neg_lo:[1,1,0]
	v_dot4_i32_iu8 v48, v1, v15, v48 neg_lo:[1,1,0]
	v_dot4_i32_iu8 v49, v2, v12, v49 neg_lo:[1,1,0]
	v_dot4_i32_iu8 v50, v2, v13, v50 neg_lo:[1,1,0]
	v_dot4_i32_iu8 v51, v2, v14, v51 neg_lo:[1,1,0]
	v_dot4_i32_iu8 v56, v2, v15, v56 neg_lo:[1,1,0]
	v_dot4_i32_iu8 v57, v3, v12, v57 neg_lo:[1,1,0]
	v_dot4_i32_iu8 v58, v3, v13, v58 neg_lo:[1,1,0]
	v_dot4_i32_iu8 v59, v3, v14, v59 neg_lo:[1,1,0]
	v_dot4_i32_iu8 v60, v3, v15, v60 neg_lo:[1,1,0]
	ds_load_b128 v[8:11], v37 offset:27648
	s_wait_dscnt 0x2
	v_dot4_i32_iu8 v61, v0, v16, v61 neg_lo:[1,1,0]
	v_dot4_i32_iu8 v70, v0, v17, v70 neg_lo:[1,1,0]
	v_dot4_i32_iu8 v74, v0, v18, v74 neg_lo:[1,1,0]
	v_dot4_i32_iu8 v20, v0, v19, v20 neg_lo:[1,1,0]
	v_dot4_i32_iu8 v52, v1, v16, v52 neg_lo:[1,1,0]
	v_dot4_i32_iu8 v77, v1, v17, v77 neg_lo:[1,1,0]
	v_dot4_i32_iu8 v78, v1, v18, v78 neg_lo:[1,1,0]
	v_dot4_i32_iu8 v21, v1, v19, v21 neg_lo:[1,1,0]
	v_dot4_i32_iu8 v53, v2, v16, v53 neg_lo:[1,1,0]
	v_dot4_i32_iu8 v76, v2, v17, v76 neg_lo:[1,1,0]
	v_dot4_i32_iu8 v75, v2, v18, v75 neg_lo:[1,1,0]
	v_dot4_i32_iu8 v22, v2, v19, v22 neg_lo:[1,1,0]
	v_dot4_i32_iu8 v54, v3, v16, v54 neg_lo:[1,1,0]
	v_dot4_i32_iu8 v72, v3, v17, v72 neg_lo:[1,1,0]
	;; [unrolled: 18-line block ×3, first 2 shown]
	v_dot4_i32_iu8 v34, v7, v14, v34 neg_lo:[1,1,0]
	v_dot4_i32_iu8 v35, v7, v15, v35 neg_lo:[1,1,0]
	;; [unrolled: 1-line block ×16, first 2 shown]
	ds_load_b128 v[12:15], v37 offset:27904
	v_dot4_i32_iu8 v26, v7, v18, v26 neg_lo:[1,1,0]
	v_dot4_i32_iu8 v27, v7, v19, v27 neg_lo:[1,1,0]
	ds_load_b128 v[4:7], v36 offset:11520
	s_wait_dscnt 0x2
	v_dot4_i32_iu8 v28, v0, v8, v28 neg_lo:[1,1,0]
	v_dot4_i32_iu8 v29, v0, v9, v29 neg_lo:[1,1,0]
	v_dot4_i32_iu8 v30, v0, v10, v30 neg_lo:[1,1,0]
	v_dot4_i32_iu8 v31, v0, v11, v31 neg_lo:[1,1,0]
	v_dot4_i32_iu8 v41, v1, v8, v41 neg_lo:[1,1,0]
	v_dot4_i32_iu8 v42, v1, v9, v42 neg_lo:[1,1,0]
	v_dot4_i32_iu8 v43, v1, v10, v43 neg_lo:[1,1,0]
	v_dot4_i32_iu8 v48, v1, v11, v48 neg_lo:[1,1,0]
	v_dot4_i32_iu8 v49, v2, v8, v49 neg_lo:[1,1,0]
	v_dot4_i32_iu8 v50, v2, v9, v50 neg_lo:[1,1,0]
	v_dot4_i32_iu8 v51, v2, v10, v51 neg_lo:[1,1,0]
	v_dot4_i32_iu8 v56, v2, v11, v56 neg_lo:[1,1,0]
	v_dot4_i32_iu8 v57, v3, v8, v57 neg_lo:[1,1,0]
	v_dot4_i32_iu8 v58, v3, v9, v58 neg_lo:[1,1,0]
	v_dot4_i32_iu8 v59, v3, v10, v59 neg_lo:[1,1,0]
	v_dot4_i32_iu8 v60, v3, v11, v60 neg_lo:[1,1,0]
	ds_load_b128 v[16:19], v37 offset:28160
	s_wait_dscnt 0x2
	v_dot4_i32_iu8 v61, v0, v12, v61 neg_lo:[1,1,0]
	v_dot4_i32_iu8 v70, v0, v13, v70 neg_lo:[1,1,0]
	v_dot4_i32_iu8 v74, v0, v14, v74 neg_lo:[1,1,0]
	v_dot4_i32_iu8 v20, v0, v15, v20 neg_lo:[1,1,0]
	v_dot4_i32_iu8 v52, v1, v12, v52 neg_lo:[1,1,0]
	v_dot4_i32_iu8 v77, v1, v13, v77 neg_lo:[1,1,0]
	v_dot4_i32_iu8 v78, v1, v14, v78 neg_lo:[1,1,0]
	v_dot4_i32_iu8 v21, v1, v15, v21 neg_lo:[1,1,0]
	v_dot4_i32_iu8 v53, v2, v12, v53 neg_lo:[1,1,0]
	v_dot4_i32_iu8 v76, v2, v13, v76 neg_lo:[1,1,0]
	v_dot4_i32_iu8 v75, v2, v14, v75 neg_lo:[1,1,0]
	v_dot4_i32_iu8 v22, v2, v15, v22 neg_lo:[1,1,0]
	v_dot4_i32_iu8 v54, v3, v12, v54 neg_lo:[1,1,0]
	v_dot4_i32_iu8 v72, v3, v13, v72 neg_lo:[1,1,0]
	;; [unrolled: 18-line block ×3, first 2 shown]
	v_dot4_i32_iu8 v34, v7, v10, v34 neg_lo:[1,1,0]
	v_dot4_i32_iu8 v35, v7, v11, v35 neg_lo:[1,1,0]
	;; [unrolled: 1-line block ×16, first 2 shown]
	ds_load_b128 v[8:11], v37 offset:28416
	v_dot4_i32_iu8 v26, v7, v14, v26 neg_lo:[1,1,0]
	v_dot4_i32_iu8 v27, v7, v15, v27 neg_lo:[1,1,0]
	ds_load_b128 v[4:7], v36 offset:12032
	s_wait_dscnt 0x2
	v_dot4_i32_iu8 v28, v0, v16, v28 neg_lo:[1,1,0]
	v_dot4_i32_iu8 v29, v0, v17, v29 neg_lo:[1,1,0]
	v_dot4_i32_iu8 v30, v0, v18, v30 neg_lo:[1,1,0]
	v_dot4_i32_iu8 v31, v0, v19, v31 neg_lo:[1,1,0]
	v_dot4_i32_iu8 v41, v1, v16, v41 neg_lo:[1,1,0]
	v_dot4_i32_iu8 v42, v1, v17, v42 neg_lo:[1,1,0]
	v_dot4_i32_iu8 v43, v1, v18, v43 neg_lo:[1,1,0]
	v_dot4_i32_iu8 v48, v1, v19, v48 neg_lo:[1,1,0]
	v_dot4_i32_iu8 v49, v2, v16, v49 neg_lo:[1,1,0]
	v_dot4_i32_iu8 v50, v2, v17, v50 neg_lo:[1,1,0]
	v_dot4_i32_iu8 v51, v2, v18, v51 neg_lo:[1,1,0]
	v_dot4_i32_iu8 v56, v2, v19, v56 neg_lo:[1,1,0]
	v_dot4_i32_iu8 v57, v3, v16, v57 neg_lo:[1,1,0]
	v_dot4_i32_iu8 v58, v3, v17, v58 neg_lo:[1,1,0]
	v_dot4_i32_iu8 v59, v3, v18, v59 neg_lo:[1,1,0]
	v_dot4_i32_iu8 v60, v3, v19, v60 neg_lo:[1,1,0]
	ds_load_b128 v[12:15], v37 offset:28672
	s_wait_dscnt 0x2
	v_dot4_i32_iu8 v61, v0, v8, v61 neg_lo:[1,1,0]
	v_dot4_i32_iu8 v70, v0, v9, v70 neg_lo:[1,1,0]
	v_dot4_i32_iu8 v74, v0, v10, v74 neg_lo:[1,1,0]
	v_dot4_i32_iu8 v20, v0, v11, v20 neg_lo:[1,1,0]
	v_dot4_i32_iu8 v52, v1, v8, v52 neg_lo:[1,1,0]
	v_dot4_i32_iu8 v77, v1, v9, v77 neg_lo:[1,1,0]
	v_dot4_i32_iu8 v78, v1, v10, v78 neg_lo:[1,1,0]
	v_dot4_i32_iu8 v21, v1, v11, v21 neg_lo:[1,1,0]
	v_dot4_i32_iu8 v53, v2, v8, v53 neg_lo:[1,1,0]
	v_dot4_i32_iu8 v76, v2, v9, v76 neg_lo:[1,1,0]
	v_dot4_i32_iu8 v75, v2, v10, v75 neg_lo:[1,1,0]
	v_dot4_i32_iu8 v22, v2, v11, v22 neg_lo:[1,1,0]
	v_dot4_i32_iu8 v54, v3, v8, v54 neg_lo:[1,1,0]
	v_dot4_i32_iu8 v72, v3, v9, v72 neg_lo:[1,1,0]
	;; [unrolled: 18-line block ×3, first 2 shown]
	v_dot4_i32_iu8 v34, v7, v18, v34 neg_lo:[1,1,0]
	v_dot4_i32_iu8 v35, v7, v19, v35 neg_lo:[1,1,0]
	;; [unrolled: 1-line block ×16, first 2 shown]
	ds_load_b128 v[16:19], v37 offset:28928
	v_dot4_i32_iu8 v26, v7, v10, v26 neg_lo:[1,1,0]
	v_dot4_i32_iu8 v27, v7, v11, v27 neg_lo:[1,1,0]
	ds_load_b128 v[4:7], v36 offset:12544
	s_wait_dscnt 0x2
	v_dot4_i32_iu8 v28, v0, v12, v28 neg_lo:[1,1,0]
	v_dot4_i32_iu8 v29, v0, v13, v29 neg_lo:[1,1,0]
	v_dot4_i32_iu8 v30, v0, v14, v30 neg_lo:[1,1,0]
	v_dot4_i32_iu8 v31, v0, v15, v31 neg_lo:[1,1,0]
	v_dot4_i32_iu8 v41, v1, v12, v41 neg_lo:[1,1,0]
	v_dot4_i32_iu8 v42, v1, v13, v42 neg_lo:[1,1,0]
	v_dot4_i32_iu8 v43, v1, v14, v43 neg_lo:[1,1,0]
	v_dot4_i32_iu8 v48, v1, v15, v48 neg_lo:[1,1,0]
	v_dot4_i32_iu8 v49, v2, v12, v49 neg_lo:[1,1,0]
	v_dot4_i32_iu8 v50, v2, v13, v50 neg_lo:[1,1,0]
	v_dot4_i32_iu8 v51, v2, v14, v51 neg_lo:[1,1,0]
	v_dot4_i32_iu8 v56, v2, v15, v56 neg_lo:[1,1,0]
	v_dot4_i32_iu8 v57, v3, v12, v57 neg_lo:[1,1,0]
	v_dot4_i32_iu8 v58, v3, v13, v58 neg_lo:[1,1,0]
	v_dot4_i32_iu8 v59, v3, v14, v59 neg_lo:[1,1,0]
	v_dot4_i32_iu8 v60, v3, v15, v60 neg_lo:[1,1,0]
	ds_load_b128 v[8:11], v37 offset:29184
	s_wait_dscnt 0x2
	v_dot4_i32_iu8 v61, v0, v16, v61 neg_lo:[1,1,0]
	v_dot4_i32_iu8 v70, v0, v17, v70 neg_lo:[1,1,0]
	v_dot4_i32_iu8 v74, v0, v18, v74 neg_lo:[1,1,0]
	v_dot4_i32_iu8 v20, v0, v19, v20 neg_lo:[1,1,0]
	v_dot4_i32_iu8 v52, v1, v16, v52 neg_lo:[1,1,0]
	v_dot4_i32_iu8 v77, v1, v17, v77 neg_lo:[1,1,0]
	v_dot4_i32_iu8 v78, v1, v18, v78 neg_lo:[1,1,0]
	v_dot4_i32_iu8 v21, v1, v19, v21 neg_lo:[1,1,0]
	v_dot4_i32_iu8 v53, v2, v16, v53 neg_lo:[1,1,0]
	v_dot4_i32_iu8 v76, v2, v17, v76 neg_lo:[1,1,0]
	v_dot4_i32_iu8 v75, v2, v18, v75 neg_lo:[1,1,0]
	v_dot4_i32_iu8 v22, v2, v19, v22 neg_lo:[1,1,0]
	v_dot4_i32_iu8 v54, v3, v16, v54 neg_lo:[1,1,0]
	v_dot4_i32_iu8 v72, v3, v17, v72 neg_lo:[1,1,0]
	;; [unrolled: 18-line block ×3, first 2 shown]
	v_dot4_i32_iu8 v34, v7, v14, v34 neg_lo:[1,1,0]
	v_dot4_i32_iu8 v35, v7, v15, v35 neg_lo:[1,1,0]
	;; [unrolled: 1-line block ×16, first 2 shown]
	ds_load_b128 v[12:15], v37 offset:29440
	v_dot4_i32_iu8 v26, v7, v18, v26 neg_lo:[1,1,0]
	v_dot4_i32_iu8 v27, v7, v19, v27 neg_lo:[1,1,0]
	ds_load_b128 v[4:7], v36 offset:13056
	s_wait_dscnt 0x2
	v_dot4_i32_iu8 v28, v0, v8, v28 neg_lo:[1,1,0]
	v_dot4_i32_iu8 v29, v0, v9, v29 neg_lo:[1,1,0]
	v_dot4_i32_iu8 v30, v0, v10, v30 neg_lo:[1,1,0]
	v_dot4_i32_iu8 v31, v0, v11, v31 neg_lo:[1,1,0]
	v_dot4_i32_iu8 v41, v1, v8, v41 neg_lo:[1,1,0]
	v_dot4_i32_iu8 v42, v1, v9, v42 neg_lo:[1,1,0]
	v_dot4_i32_iu8 v43, v1, v10, v43 neg_lo:[1,1,0]
	v_dot4_i32_iu8 v48, v1, v11, v48 neg_lo:[1,1,0]
	v_dot4_i32_iu8 v49, v2, v8, v49 neg_lo:[1,1,0]
	v_dot4_i32_iu8 v50, v2, v9, v50 neg_lo:[1,1,0]
	v_dot4_i32_iu8 v51, v2, v10, v51 neg_lo:[1,1,0]
	v_dot4_i32_iu8 v56, v2, v11, v56 neg_lo:[1,1,0]
	v_dot4_i32_iu8 v57, v3, v8, v57 neg_lo:[1,1,0]
	v_dot4_i32_iu8 v58, v3, v9, v58 neg_lo:[1,1,0]
	v_dot4_i32_iu8 v59, v3, v10, v59 neg_lo:[1,1,0]
	v_dot4_i32_iu8 v60, v3, v11, v60 neg_lo:[1,1,0]
	ds_load_b128 v[16:19], v37 offset:29696
	s_wait_dscnt 0x2
	v_dot4_i32_iu8 v61, v0, v12, v61 neg_lo:[1,1,0]
	v_dot4_i32_iu8 v70, v0, v13, v70 neg_lo:[1,1,0]
	v_dot4_i32_iu8 v74, v0, v14, v74 neg_lo:[1,1,0]
	v_dot4_i32_iu8 v20, v0, v15, v20 neg_lo:[1,1,0]
	v_dot4_i32_iu8 v52, v1, v12, v52 neg_lo:[1,1,0]
	v_dot4_i32_iu8 v77, v1, v13, v77 neg_lo:[1,1,0]
	v_dot4_i32_iu8 v78, v1, v14, v78 neg_lo:[1,1,0]
	v_dot4_i32_iu8 v21, v1, v15, v21 neg_lo:[1,1,0]
	v_dot4_i32_iu8 v53, v2, v12, v53 neg_lo:[1,1,0]
	v_dot4_i32_iu8 v76, v2, v13, v76 neg_lo:[1,1,0]
	v_dot4_i32_iu8 v75, v2, v14, v75 neg_lo:[1,1,0]
	v_dot4_i32_iu8 v22, v2, v15, v22 neg_lo:[1,1,0]
	v_dot4_i32_iu8 v54, v3, v12, v54 neg_lo:[1,1,0]
	v_dot4_i32_iu8 v72, v3, v13, v72 neg_lo:[1,1,0]
	;; [unrolled: 18-line block ×3, first 2 shown]
	v_dot4_i32_iu8 v34, v7, v10, v34 neg_lo:[1,1,0]
	v_dot4_i32_iu8 v35, v7, v11, v35 neg_lo:[1,1,0]
	;; [unrolled: 1-line block ×16, first 2 shown]
	ds_load_b128 v[8:11], v37 offset:29952
	v_dot4_i32_iu8 v26, v7, v14, v26 neg_lo:[1,1,0]
	v_dot4_i32_iu8 v27, v7, v15, v27 neg_lo:[1,1,0]
	ds_load_b128 v[4:7], v36 offset:13568
	s_wait_dscnt 0x2
	v_dot4_i32_iu8 v28, v0, v16, v28 neg_lo:[1,1,0]
	v_dot4_i32_iu8 v29, v0, v17, v29 neg_lo:[1,1,0]
	v_dot4_i32_iu8 v30, v0, v18, v30 neg_lo:[1,1,0]
	v_dot4_i32_iu8 v31, v0, v19, v31 neg_lo:[1,1,0]
	v_dot4_i32_iu8 v41, v1, v16, v41 neg_lo:[1,1,0]
	v_dot4_i32_iu8 v42, v1, v17, v42 neg_lo:[1,1,0]
	v_dot4_i32_iu8 v43, v1, v18, v43 neg_lo:[1,1,0]
	v_dot4_i32_iu8 v48, v1, v19, v48 neg_lo:[1,1,0]
	v_dot4_i32_iu8 v49, v2, v16, v49 neg_lo:[1,1,0]
	v_dot4_i32_iu8 v50, v2, v17, v50 neg_lo:[1,1,0]
	v_dot4_i32_iu8 v51, v2, v18, v51 neg_lo:[1,1,0]
	v_dot4_i32_iu8 v56, v2, v19, v56 neg_lo:[1,1,0]
	v_dot4_i32_iu8 v57, v3, v16, v57 neg_lo:[1,1,0]
	v_dot4_i32_iu8 v58, v3, v17, v58 neg_lo:[1,1,0]
	v_dot4_i32_iu8 v59, v3, v18, v59 neg_lo:[1,1,0]
	v_dot4_i32_iu8 v60, v3, v19, v60 neg_lo:[1,1,0]
	ds_load_b128 v[12:15], v37 offset:30208
	s_wait_dscnt 0x2
	v_dot4_i32_iu8 v61, v0, v8, v61 neg_lo:[1,1,0]
	v_dot4_i32_iu8 v70, v0, v9, v70 neg_lo:[1,1,0]
	v_dot4_i32_iu8 v74, v0, v10, v74 neg_lo:[1,1,0]
	v_dot4_i32_iu8 v20, v0, v11, v20 neg_lo:[1,1,0]
	v_dot4_i32_iu8 v52, v1, v8, v52 neg_lo:[1,1,0]
	v_dot4_i32_iu8 v77, v1, v9, v77 neg_lo:[1,1,0]
	v_dot4_i32_iu8 v78, v1, v10, v78 neg_lo:[1,1,0]
	v_dot4_i32_iu8 v21, v1, v11, v21 neg_lo:[1,1,0]
	v_dot4_i32_iu8 v53, v2, v8, v53 neg_lo:[1,1,0]
	v_dot4_i32_iu8 v76, v2, v9, v76 neg_lo:[1,1,0]
	v_dot4_i32_iu8 v75, v2, v10, v75 neg_lo:[1,1,0]
	v_dot4_i32_iu8 v22, v2, v11, v22 neg_lo:[1,1,0]
	v_dot4_i32_iu8 v54, v3, v8, v54 neg_lo:[1,1,0]
	v_dot4_i32_iu8 v72, v3, v9, v72 neg_lo:[1,1,0]
	;; [unrolled: 18-line block ×3, first 2 shown]
	v_dot4_i32_iu8 v34, v7, v18, v34 neg_lo:[1,1,0]
	v_dot4_i32_iu8 v35, v7, v19, v35 neg_lo:[1,1,0]
	ds_load_b128 v[16:19], v37 offset:30464
	v_dot4_i32_iu8 v40, v4, v8, v40 neg_lo:[1,1,0]
	v_dot4_i32_iu8 v44, v4, v9, v44 neg_lo:[1,1,0]
	s_wait_dscnt 0x1
	v_dot4_i32_iu8 v28, v0, v12, v28 neg_lo:[1,1,0]
	v_dot4_i32_iu8 v29, v0, v13, v29 neg_lo:[1,1,0]
	;; [unrolled: 1-line block ×17, first 2 shown]
	s_wait_dscnt 0x0
	v_dot4_i32_iu8 v61, v0, v16, v61 neg_lo:[1,1,0]
	v_dot4_i32_iu8 v70, v0, v17, v70 neg_lo:[1,1,0]
	;; [unrolled: 1-line block ×4, first 2 shown]
	v_lshl_or_b32 v0, s43, 7, v39
	v_dot4_i32_iu8 v53, v2, v16, v53 neg_lo:[1,1,0]
	v_dot4_i32_iu8 v76, v2, v17, v76 neg_lo:[1,1,0]
	;; [unrolled: 1-line block ×4, first 2 shown]
	v_mul_lo_u32 v2, v0, s44
	v_dot4_i32_iu8 v52, v1, v16, v52 neg_lo:[1,1,0]
	v_dot4_i32_iu8 v77, v1, v17, v77 neg_lo:[1,1,0]
	;; [unrolled: 1-line block ×4, first 2 shown]
	v_lshl_add_u32 v1, s41, 7, v38
	v_dot4_i32_iu8 v83, v5, v11, v83 neg_lo:[1,1,0]
	v_dot4_i32_iu8 v84, v6, v8, v84 neg_lo:[1,1,0]
	v_dot4_i32_iu8 v85, v6, v9, v85 neg_lo:[1,1,0]
	v_dot4_i32_iu8 v86, v6, v10, v86 neg_lo:[1,1,0]
	v_mad_co_u64_u32 v[20:21], null, v1, s45, v[2:3]
	v_dot4_i32_iu8 v87, v6, v11, v87 neg_lo:[1,1,0]
	v_dot4_i32_iu8 v24, v7, v8, v24 neg_lo:[1,1,0]
	;; [unrolled: 1-line block ×5, first 2 shown]
	ds_load_b128 v[4:7], v36 offset:14080
	ds_load_b128 v[8:11], v36 offset:14336
	s_mov_b32 s23, 0x31004000
	s_lshl_b32 s0, s45, 6
	buffer_load_b32 v2, v20, s[20:23], null offen
	v_dot4_i32_iu8 v57, v3, v12, v57 neg_lo:[1,1,0]
	v_dot4_i32_iu8 v58, v3, v13, v58 neg_lo:[1,1,0]
	;; [unrolled: 1-line block ×8, first 2 shown]
	s_add_co_i32 s1, s0, s44
	s_lshl_b32 s2, s45, 7
	v_cmp_gt_i32_e32 vcc_lo, s39, v1
	s_wait_alu 0xfffe
	s_sub_co_i32 s1, s1, s2
	s_mul_i32 s2, s44, 60
	s_lshl_b32 s3, s35, 6
	s_wait_dscnt 0x1
	v_dot4_i32_iu8 v39, v4, v12, v55 neg_lo:[1,1,0]
	v_dot4_i32_iu8 v55, v4, v13, v68 neg_lo:[1,1,0]
	;; [unrolled: 1-line block ×8, first 2 shown]
	v_add_nc_u32_e32 v4, s0, v20
	v_dot4_i32_iu8 v65, v5, v12, v65 neg_lo:[1,1,0]
	v_dot4_i32_iu8 v38, v5, v13, v64 neg_lo:[1,1,0]
	;; [unrolled: 1-line block ×4, first 2 shown]
	buffer_load_b32 v3, v4, s[20:23], null offen
	v_dot4_i32_iu8 v64, v6, v12, v69 neg_lo:[1,1,0]
	v_dot4_i32_iu8 v68, v6, v13, v73 neg_lo:[1,1,0]
	;; [unrolled: 1-line block ×8, first 2 shown]
	v_add_nc_u32_e32 v5, s1, v4
	v_dot4_i32_iu8 v32, v7, v12, v32 neg_lo:[1,1,0]
	v_dot4_i32_iu8 v33, v7, v13, v33 neg_lo:[1,1,0]
	;; [unrolled: 1-line block ×4, first 2 shown]
	ds_load_b128 v[12:15], v37 offset:30720
	v_dot4_i32_iu8 v82, v6, v16, v84 neg_lo:[1,1,0]
	v_dot4_i32_iu8 v83, v6, v17, v85 neg_lo:[1,1,0]
	;; [unrolled: 1-line block ×8, first 2 shown]
	ds_load_b128 v[16:19], v37 offset:30976
	ds_load_b128 v[20:23], v36 offset:14592
	buffer_load_b32 v4, v5, s[20:23], null offen
	v_add_nc_u32_e32 v6, s0, v5
	buffer_load_b32 v5, v6, s[20:23], null offen
	s_wait_dscnt 0x2
	v_dot4_i32_iu8 v27, v8, v12, v28 neg_lo:[1,1,0]
	v_dot4_i32_iu8 v28, v8, v13, v29 neg_lo:[1,1,0]
	;; [unrolled: 1-line block ×8, first 2 shown]
	s_wait_dscnt 0x1
	v_dot4_i32_iu8 v86, v9, v19, v89 neg_lo:[1,1,0]
	v_add_nc_u32_e32 v89, s1, v6
	v_dot4_i32_iu8 v87, v10, v19, v90 neg_lo:[1,1,0]
	s_wait_dscnt 0x0
	v_dot4_i32_iu8 v90, v23, v19, v7 neg_lo:[1,1,0]
	v_dot4_i32_iu8 v48, v10, v12, v49 neg_lo:[1,1,0]
	;; [unrolled: 1-line block ×3, first 2 shown]
	buffer_load_b32 v6, v89, s[20:23], null offen
	v_add_nc_u32_e32 v89, s0, v89
	v_dot4_i32_iu8 v50, v10, v14, v51 neg_lo:[1,1,0]
	v_dot4_i32_iu8 v51, v10, v15, v56 neg_lo:[1,1,0]
	v_dot4_i32_iu8 v56, v11, v12, v57 neg_lo:[1,1,0]
	v_dot4_i32_iu8 v57, v11, v13, v58 neg_lo:[1,1,0]
	buffer_load_b32 v7, v89, s[20:23], null offen
	v_add_nc_u32_e32 v89, s1, v89
	v_dot4_i32_iu8 v58, v11, v14, v59 neg_lo:[1,1,0]
	v_dot4_i32_iu8 v59, v11, v15, v60 neg_lo:[1,1,0]
	;; [unrolled: 1-line block ×7, first 2 shown]
	buffer_load_b32 v91, v89, s[20:23], null offen
	v_add_nc_u32_e32 v89, s0, v89
	v_dot4_i32_iu8 v52, v9, v16, v52 neg_lo:[1,1,0]
	v_dot4_i32_iu8 v77, v9, v17, v77 neg_lo:[1,1,0]
	;; [unrolled: 1-line block ×4, first 2 shown]
	buffer_load_b32 v92, v89, s[20:23], null offen
	v_dot4_i32_iu8 v76, v10, v17, v76 neg_lo:[1,1,0]
	v_dot4_i32_iu8 v75, v10, v18, v75 neg_lo:[1,1,0]
	;; [unrolled: 1-line block ×5, first 2 shown]
	ds_load_b128 v[8:11], v36 offset:14848
	v_dot4_i32_iu8 v39, v20, v12, v39 neg_lo:[1,1,0]
	v_dot4_i32_iu8 v55, v20, v13, v55 neg_lo:[1,1,0]
	;; [unrolled: 1-line block ×16, first 2 shown]
	ds_load_b128 v[12:15], v37 offset:31232
	v_dot4_i32_iu8 v40, v20, v16, v40 neg_lo:[1,1,0]
	v_dot4_i32_iu8 v44, v20, v17, v44 neg_lo:[1,1,0]
	;; [unrolled: 1-line block ×15, first 2 shown]
	ds_load_b128 v[16:19], v37 offset:31488
	ds_load_b128 v[20:23], v36 offset:15104
	v_add3_u32 v89, s1, s2, v89
	s_wait_dscnt 0x2
	v_dot4_i32_iu8 v27, v8, v12, v27 neg_lo:[1,1,0]
	v_dot4_i32_iu8 v28, v8, v13, v28 neg_lo:[1,1,0]
	;; [unrolled: 1-line block ×3, first 2 shown]
	buffer_load_b32 v93, v89, s[20:23], null offen
	v_add_nc_u32_e32 v89, s0, v89
	v_dot4_i32_iu8 v30, v8, v15, v30 neg_lo:[1,1,0]
	v_dot4_i32_iu8 v31, v9, v12, v31 neg_lo:[1,1,0]
	;; [unrolled: 1-line block ×13, first 2 shown]
	s_wait_dscnt 0x1
	v_dot4_i32_iu8 v60, v8, v16, v60 neg_lo:[1,1,0]
	v_dot4_i32_iu8 v61, v8, v17, v61 neg_lo:[1,1,0]
	;; [unrolled: 1-line block ×16, first 2 shown]
	ds_load_b128 v[8:11], v36 offset:15360
	s_wait_dscnt 0x1
	v_dot4_i32_iu8 v39, v20, v12, v39 neg_lo:[1,1,0]
	v_dot4_i32_iu8 v55, v20, v13, v55 neg_lo:[1,1,0]
	;; [unrolled: 1-line block ×16, first 2 shown]
	ds_load_b128 v[12:15], v37 offset:31744
	v_dot4_i32_iu8 v40, v20, v16, v40 neg_lo:[1,1,0]
	v_dot4_i32_iu8 v44, v20, v17, v44 neg_lo:[1,1,0]
	;; [unrolled: 1-line block ×16, first 2 shown]
	ds_load_b128 v[16:19], v37 offset:32000
	ds_load_b128 v[20:23], v36 offset:15616
	buffer_load_b32 v94, v89, s[20:23], null offen
	v_add_nc_u32_e32 v89, s1, v89
	s_wait_dscnt 0x2
	v_dot4_i32_iu8 v27, v8, v12, v27 neg_lo:[1,1,0]
	v_dot4_i32_iu8 v28, v8, v13, v28 neg_lo:[1,1,0]
	;; [unrolled: 1-line block ×4, first 2 shown]
	buffer_load_b32 v95, v89, s[20:23], null offen
	v_add_nc_u32_e32 v89, s0, v89
	v_dot4_i32_iu8 v31, v9, v12, v31 neg_lo:[1,1,0]
	v_dot4_i32_iu8 v41, v9, v13, v41 neg_lo:[1,1,0]
	;; [unrolled: 1-line block ×4, first 2 shown]
	buffer_load_b32 v96, v89, s[20:23], null offen
	v_add_nc_u32_e32 v89, s1, v89
	v_dot4_i32_iu8 v48, v10, v12, v48 neg_lo:[1,1,0]
	v_dot4_i32_iu8 v49, v10, v13, v49 neg_lo:[1,1,0]
	;; [unrolled: 1-line block ×8, first 2 shown]
	s_wait_dscnt 0x1
	v_dot4_i32_iu8 v60, v8, v16, v60 neg_lo:[1,1,0]
	v_dot4_i32_iu8 v61, v8, v17, v61 neg_lo:[1,1,0]
	;; [unrolled: 1-line block ×16, first 2 shown]
	ds_load_b128 v[8:11], v36 offset:15872
	s_wait_dscnt 0x1
	v_dot4_i32_iu8 v39, v20, v12, v39 neg_lo:[1,1,0]
	v_dot4_i32_iu8 v55, v20, v13, v55 neg_lo:[1,1,0]
	;; [unrolled: 1-line block ×16, first 2 shown]
	ds_load_b128 v[12:15], v37 offset:32256
	buffer_load_b32 v97, v89, s[20:23], null offen
	v_dot4_i32_iu8 v40, v20, v16, v40 neg_lo:[1,1,0]
	v_dot4_i32_iu8 v44, v20, v17, v44 neg_lo:[1,1,0]
	;; [unrolled: 1-line block ×16, first 2 shown]
	ds_load_b128 v[16:19], v37 offset:32512
	ds_load_b128 v[20:23], v36 offset:16128
	v_add_nc_u32_e32 v36, s0, v89
	s_wait_dscnt 0x2
	v_dot4_i32_iu8 v37, v9, v13, v41 neg_lo:[1,1,0]
	v_dot4_i32_iu8 v41, v9, v14, v42 neg_lo:[1,1,0]
	;; [unrolled: 1-line block ×4, first 2 shown]
	buffer_load_b32 v42, v36, s[20:23], null offen
	v_add_nc_u32_e32 v36, s1, v36
	v_dot4_i32_iu8 v29, v8, v14, v29 neg_lo:[1,1,0]
	v_dot4_i32_iu8 v30, v8, v15, v30 neg_lo:[1,1,0]
	v_cmp_gt_i32_e64 s1, s15, v0
	v_dot4_i32_iu8 v31, v9, v12, v31 neg_lo:[1,1,0]
	v_dot4_i32_iu8 v48, v10, v12, v48 neg_lo:[1,1,0]
	;; [unrolled: 1-line block ×8, first 2 shown]
	s_wait_dscnt 0x1
	v_dot4_i32_iu8 v60, v8, v16, v60 neg_lo:[1,1,0]
	v_dot4_i32_iu8 v61, v8, v17, v61 neg_lo:[1,1,0]
	;; [unrolled: 1-line block ×6, first 2 shown]
	buffer_load_b32 v78, v36, s[20:23], null offen
	v_add_nc_u32_e32 v36, s0, v36
	s_and_b32 s0, s1, vcc_lo
	s_wait_dscnt 0x0
	v_dot4_i32_iu8 v39, v20, v12, v39 neg_lo:[1,1,0]
	v_dot4_i32_iu8 v65, v21, v12, v65 neg_lo:[1,1,0]
	;; [unrolled: 1-line block ×3, first 2 shown]
	buffer_load_b32 v36, v36, s[20:23], null offen
	v_dot4_i32_iu8 v12, v23, v12, v32 neg_lo:[1,1,0]
	v_dot4_i32_iu8 v32, v20, v16, v40 neg_lo:[1,1,0]
	;; [unrolled: 1-line block ×5, first 2 shown]
	s_wait_loadcnt 0xf
	v_cndmask_b32_e64 v2, 0, v2, s0
	v_dot4_i32_iu8 v75, v10, v18, v75 neg_lo:[1,1,0]
	v_dot4_i32_iu8 v71, v11, v18, v71 neg_lo:[1,1,0]
	;; [unrolled: 1-line block ×4, first 2 shown]
	v_lshrrev_b32_e32 v79, 8, v2
	v_dot4_i32_iu8 v66, v20, v15, v66 neg_lo:[1,1,0]
	v_dot4_i32_iu8 v38, v21, v13, v38 neg_lo:[1,1,0]
	;; [unrolled: 1-line block ×16, first 2 shown]
	v_add_nc_u32_e32 v26, 64, v1
	v_dot4_i32_iu8 v52, v9, v16, v52 neg_lo:[1,1,0]
	v_dot4_i32_iu8 v53, v10, v16, v53 neg_lo:[1,1,0]
	;; [unrolled: 1-line block ×10, first 2 shown]
	v_add_nc_u16 v24, v2, v27
	v_add_nc_u16 v25, v79, v28
	v_cmp_gt_i32_e64 s0, s39, v26
	v_dot4_i32_iu8 v9, v9, v19, v86 neg_lo:[1,1,0]
	v_dot4_i32_iu8 v10, v10, v19, v87 neg_lo:[1,1,0]
	;; [unrolled: 1-line block ×6, first 2 shown]
	v_bfe_i32 v23, v24, 0, 8
	v_bfe_i32 v24, v25, 0, 8
	v_lshrrev_b32_e32 v25, 16, v2
	v_lshrrev_b32_e32 v2, 24, v2
	s_and_b32 s1, s1, s0
	v_or_b32_e32 v28, 1, v0
	s_wait_loadcnt 0xe
	s_wait_alu 0xfffe
	v_cndmask_b32_e64 v3, 0, v3, s1
	v_add_nc_u16 v25, v25, v29
	v_add_nc_u16 v2, v2, v30
	v_max_i16 v23, v23, 0
	v_cmp_gt_i32_e64 s1, s15, v28
	v_lshrrev_b32_e32 v29, 8, v3
	v_add_nc_u16 v27, v3, v60
	v_bfe_i32 v2, v2, 0, 8
	v_max_i16 v24, v24, 0
	s_and_b32 s2, s1, vcc_lo
	s_and_b32 s1, s1, s0
	s_wait_loadcnt 0xd
	s_wait_alu 0xfffe
	v_cndmask_b32_e64 v4, 0, v4, s2
	v_max_i16 v30, v2, 0
	v_add_nc_u16 v2, v29, v61
	v_lshrrev_b32_e32 v29, 16, v3
	v_lshrrev_b32_e32 v3, 24, v3
	;; [unrolled: 1-line block ×3, first 2 shown]
	s_wait_loadcnt 0xc
	v_cndmask_b32_e64 v5, 0, v5, s1
	v_bfe_i32 v2, v2, 0, 8
	v_add_nc_u16 v29, v29, v70
	v_add_nc_u16 v3, v3, v8
	v_bfe_i32 v25, v25, 0, 8
	v_bfe_i32 v27, v27, 0, 8
	v_max_i16 v2, v2, 0
	v_bfe_i32 v8, v29, 0, 8
	v_add_nc_u16 v29, v4, v31
	v_add_nc_u16 v31, v60, v37
	v_and_b32_e32 v23, 0xffff, v23
	v_and_b32_e32 v37, 0xffff, v2
	v_bfe_i32 v2, v3, 0, 8
	v_max_i16 v3, v8, 0
	v_bfe_i32 v8, v29, 0, 8
	v_bfe_i32 v29, v31, 0, 8
	v_lshrrev_b32_e32 v31, 16, v4
	v_max_i16 v60, v2, 0
	v_lshrrev_b32_e32 v2, 24, v4
	v_max_i16 v4, v8, 0
	v_max_i16 v8, v29, 0
	v_add_nc_u16 v29, v31, v41
	v_or_b32_e32 v41, 2, v0
	v_add_nc_u16 v2, v2, v43
	v_lshrrev_b32_e32 v43, 8, v5
	v_add_nc_u16 v31, v5, v52
	v_and_b32_e32 v24, 0xffff, v24
	v_cmp_gt_i32_e64 s1, s15, v41
	v_bfe_i32 v2, v2, 0, 8
	v_max_i16 v25, v25, 0
	v_max_i16 v27, v27, 0
	v_bfe_i32 v31, v31, 0, 8
	s_and_b32 s2, s1, vcc_lo
	v_max_i16 v52, v2, 0
	v_add_nc_u16 v2, v43, v74
	v_lshrrev_b32_e32 v43, 16, v5
	s_wait_loadcnt 0xb
	s_wait_alu 0xfffe
	v_cndmask_b32_e64 v6, 0, v6, s2
	v_lshrrev_b32_e32 v5, 24, v5
	s_and_b32 s1, s1, s0
	v_bfe_i32 v2, v2, 0, 8
	v_add_nc_u16 v43, v43, v77
	v_lshrrev_b32_e32 v61, 8, v6
	v_add_nc_u16 v5, v5, v9
	s_wait_loadcnt 0xa
	s_wait_alu 0xfffe
	v_cndmask_b32_e64 v7, 0, v7, s1
	v_max_i16 v2, v2, 0
	v_bfe_i32 v9, v43, 0, 8
	v_add_nc_u16 v43, v6, v48
	v_add_nc_u16 v48, v61, v49
	v_and_b32_e32 v27, 0xffff, v27
	v_and_b32_e32 v49, 0xffff, v2
	v_bfe_i32 v2, v5, 0, 8
	v_max_i16 v5, v9, 0
	v_bfe_i32 v9, v43, 0, 8
	v_bfe_i32 v43, v48, 0, 8
	v_lshrrev_b32_e32 v48, 16, v6
	v_max_i16 v61, v2, 0
	v_lshrrev_b32_e32 v2, 24, v6
	v_max_i16 v6, v9, 0
	v_max_i16 v9, v43, 0
	v_add_nc_u16 v43, v48, v50
	v_or_b32_e32 v50, 3, v0
	v_add_nc_u16 v2, v2, v51
	v_lshrrev_b32_e32 v51, 8, v7
	v_add_nc_u16 v48, v7, v53
	v_max_i16 v31, v31, 0
	v_cmp_gt_i32_e64 s1, s15, v50
	v_bfe_i32 v2, v2, 0, 8
	v_bfe_i32 v29, v29, 0, 8
	;; [unrolled: 1-line block ×3, first 2 shown]
	v_and_b32_e32 v31, 0xffff, v31
	s_and_b32 s2, s1, vcc_lo
	v_max_i16 v53, v2, 0
	v_add_nc_u16 v2, v51, v76
	v_lshrrev_b32_e32 v51, 16, v7
	s_wait_loadcnt 0x9
	s_wait_alu 0xfffe
	v_cndmask_b32_e64 v70, 0, v91, s2
	v_lshrrev_b32_e32 v7, 24, v7
	s_and_b32 s1, s1, s0
	v_bfe_i32 v2, v2, 0, 8
	v_add_nc_u16 v51, v51, v75
	v_lshrrev_b32_e32 v74, 8, v70
	v_add_nc_u16 v7, v7, v10
	v_bfe_i32 v48, v48, 0, 8
	v_max_i16 v2, v2, 0
	v_bfe_i32 v10, v51, 0, 8
	v_add_nc_u16 v51, v70, v56
	v_add_nc_u16 v56, v74, v57
	v_and_b32_e32 v4, 0xffff, v4
	v_and_b32_e32 v57, 0xffff, v2
	v_bfe_i32 v2, v7, 0, 8
	v_max_i16 v7, v10, 0
	v_bfe_i32 v10, v51, 0, 8
	v_bfe_i32 v51, v56, 0, 8
	v_lshrrev_b32_e32 v56, 16, v70
	v_max_i16 v74, v2, 0
	v_lshrrev_b32_e32 v2, 24, v70
	v_and_b32_e32 v8, 0xffff, v8
	v_max_i16 v29, v29, 0
	v_add_nc_u16 v56, v56, v58
	s_wait_loadcnt 0x8
	s_wait_alu 0xfffe
	v_cndmask_b32_e64 v58, 0, v92, s1
	v_add_nc_u16 v2, v2, v59
	v_or_b32_e32 v59, 64, v0
	v_and_b32_e32 v6, 0xffff, v6
	v_and_b32_e32 v9, 0xffff, v9
	v_lshrrev_b32_e32 v70, 8, v58
	v_bfe_i32 v2, v2, 0, 8
	v_cmp_gt_i32_e64 s1, s15, v59
	v_add_nc_u16 v54, v58, v54
	v_max_i16 v43, v43, 0
	v_lshlrev_b32_e32 v5, 16, v5
	v_max_i16 v75, v2, 0
	v_add_nc_u16 v2, v70, v72
	v_lshrrev_b32_e32 v70, 16, v58
	v_lshrrev_b32_e32 v58, 24, v58
	s_and_b32 s2, s1, vcc_lo
	s_and_b32 s1, s1, s0
	v_bfe_i32 v2, v2, 0, 8
	s_wait_loadcnt 0x7
	s_wait_alu 0xfffe
	v_cndmask_b32_e64 v72, 0, v93, s2
	v_add_nc_u16 v70, v70, v71
	v_add_nc_u16 v11, v58, v11
	v_max_i16 v48, v48, 0
	v_max_i16 v2, v2, 0
	v_lshrrev_b32_e32 v71, 8, v72
	v_bfe_i32 v58, v70, 0, 8
	v_add_nc_u16 v39, v72, v39
	v_bfe_i32 v54, v54, 0, 8
	v_and_b32_e32 v70, 0xffff, v2
	v_bfe_i32 v2, v11, 0, 8
	v_add_nc_u16 v55, v71, v55
	v_max_i16 v11, v58, 0
	v_lshrrev_b32_e32 v58, 16, v72
	v_lshl_or_b32 v4, v8, 8, v4
	v_max_i16 v71, v2, 0
	v_lshrrev_b32_e32 v2, 24, v72
	v_lshlrev_b32_e32 v8, 16, v29
	v_add_nc_u16 v58, v58, v67
	v_lshl_or_b32 v6, v9, 8, v6
	v_lshlrev_b32_e32 v9, 16, v43
	v_add_nc_u16 v2, v2, v66
	v_add_nc_u32_e32 v66, 0x41, v0
	v_and_b32_e32 v48, 0xffff, v48
	v_max_i16 v54, v54, 0
	v_max_i16 v10, v10, 0
	v_bfe_i32 v2, v2, 0, 8
	v_max_i16 v51, v51, 0
	v_bfe_i32 v56, v56, 0, 8
	s_wait_loadcnt 0x6
	v_cndmask_b32_e64 v67, 0, v94, s1
	v_cmp_gt_i32_e64 s1, s15, v66
	v_max_i16 v76, v2, 0
	v_and_b32_e32 v54, 0xffff, v54
	v_lshlrev_b32_e32 v7, 16, v7
	v_lshrrev_b32_e32 v72, 8, v67
	s_and_b32 s2, s1, vcc_lo
	v_add_nc_u16 v32, v67, v32
	s_and_b32 s1, s1, s0
	v_and_b32_e32 v10, 0xffff, v10
	v_add_nc_u16 v2, v72, v33
	v_lshrrev_b32_e32 v33, 16, v67
	s_wait_loadcnt 0x5
	s_wait_alu 0xfffe
	v_cndmask_b32_e64 v72, 0, v95, s2
	v_lshrrev_b32_e32 v67, 24, v67
	v_and_b32_e32 v51, 0xffff, v51
	v_bfe_i32 v2, v2, 0, 8
	v_add_nc_u16 v33, v33, v34
	v_lshrrev_b32_e32 v34, 8, v72
	v_add_nc_u16 v20, v67, v20
	v_add_nc_u16 v65, v72, v65
	v_max_i16 v2, v2, 0
	v_bfe_i32 v33, v33, 0, 8
	v_add_nc_u16 v34, v34, v38
	v_max_i16 v56, v56, 0
	v_lshl_or_b32 v10, v51, 8, v10
	v_and_b32_e32 v38, 0xffff, v2
	v_bfe_i32 v2, v20, 0, 8
	v_max_i16 v20, v33, 0
	v_bfe_i32 v33, v65, 0, 8
	v_lshrrev_b32_e32 v65, 16, v72
	v_bfe_i32 v34, v34, 0, 8
	v_max_i16 v67, v2, 0
	v_lshrrev_b32_e32 v2, 24, v72
	v_max_i16 v33, v33, 0
	v_add_nc_u16 v63, v65, v63
	s_wait_loadcnt 0x4
	v_cndmask_b32_e64 v65, 0, v96, s1
	v_max_i16 v34, v34, 0
	v_add_nc_u16 v2, v2, v62
	v_and_b32_e32 v33, 0xffff, v33
	v_bfe_i32 v62, v63, 0, 8
	v_add_nc_u32_e32 v63, 0x42, v0
	v_lshrrev_b32_e32 v72, 8, v65
	v_bfe_i32 v2, v2, 0, 8
	v_add_nc_u16 v35, v65, v35
	v_and_b32_e32 v34, 0xffff, v34
	v_cmp_gt_i32_e64 s1, s15, v63
	v_max_i16 v62, v62, 0
	v_max_i16 v77, v2, 0
	v_add_nc_u16 v2, v72, v40
	v_lshrrev_b32_e32 v40, 16, v65
	s_and_b32 s2, s1, vcc_lo
	s_and_b32 s1, s1, s0
	v_bfe_i32 v35, v35, 0, 8
	v_bfe_i32 v2, v2, 0, 8
	v_add_nc_u16 v40, v40, v44
	v_lshrrev_b32_e32 v44, 24, v65
	s_wait_loadcnt 0x3
	s_wait_alu 0xfffe
	v_cndmask_b32_e64 v72, 0, v97, s2
	v_bfe_i32 v32, v32, 0, 8
	v_max_i16 v2, v2, 0
	v_max_i16 v35, v35, 0
	v_add_nc_u16 v21, v44, v21
	v_lshrrev_b32_e32 v65, 8, v72
	v_add_nc_u16 v44, v72, v64
	v_bfe_i32 v40, v40, 0, 8
	v_bfe_i32 v39, v39, 0, 8
	;; [unrolled: 1-line block ×3, first 2 shown]
	v_add_nc_u16 v64, v65, v68
	v_and_b32_e32 v65, 0xffff, v2
	v_bfe_i32 v2, v21, 0, 8
	v_bfe_i32 v21, v44, 0, 8
	v_lshrrev_b32_e32 v68, 24, v72
	v_bfe_i32 v44, v64, 0, 8
	v_lshrrev_b32_e32 v64, 16, v72
	v_max_i16 v72, v2, 0
	v_max_i16 v2, v21, 0
	v_max_i16 v32, v32, 0
	v_max_i16 v21, v44, 0
	v_add_nc_u16 v44, v64, v69
	v_add_nc_u16 v64, v68, v73
	s_wait_loadcnt 0x2
	v_cndmask_b32_e64 v42, 0, v42, s1
	v_add_nc_u32_e32 v73, 0x43, v0
	v_and_b32_e32 v68, 0xffff, v2
	v_bfe_i32 v2, v44, 0, 8
	v_bfe_i32 v44, v64, 0, 8
	v_add_nc_u16 v45, v42, v45
	v_lshrrev_b32_e32 v64, 8, v42
	v_cmp_gt_i32_e64 s1, s15, v73
	v_max_i16 v69, v2, 0
	s_mov_b32 s15, s23
	v_bfe_i32 v2, v45, 0, 8
	v_add_nc_u16 v45, v64, v46
	v_lshrrev_b32_e32 v46, 16, v42
	v_lshrrev_b32_e32 v42, 24, v42
	s_and_b32 vcc_lo, s1, vcc_lo
	v_max_i16 v2, v2, 0
	v_bfe_i32 v45, v45, 0, 8
	v_add_nc_u16 v46, v46, v47
	v_add_nc_u16 v22, v42, v22
	s_wait_loadcnt 0x1
	s_wait_alu 0xfffe
	v_cndmask_b32_e32 v42, 0, v78, vcc_lo
	v_and_b32_e32 v47, 0xffff, v2
	v_max_i16 v2, v45, 0
	v_bfe_i32 v45, v46, 0, 8
	s_and_b32 vcc_lo, s1, s0
	v_lshrrev_b32_e32 v46, 8, v42
	s_wait_loadcnt 0x0
	s_wait_alu 0xfffe
	v_cndmask_b32_e32 v36, 0, v36, vcc_lo
	v_and_b32_e32 v64, 0xffff, v2
	v_add_nc_u16 v12, v42, v12
	v_cmp_gt_i32_e32 vcc_lo, s36, v1
	v_add_nc_u16 v2, v46, v13
	v_lshrrev_b32_e32 v13, 16, v42
	v_add_nc_u16 v16, v36, v16
	v_cmp_gt_i32_e64 s0, s33, v0
	v_bfe_i32 v12, v12, 0, 8
	v_bfe_i32 v2, v2, 0, 8
	v_add_nc_u16 v13, v13, v14
	v_lshrrev_b32_e32 v14, 24, v42
	v_lshrrev_b32_e32 v42, 8, v36
	s_and_b32 s1, s0, vcc_lo
	v_max_i16 v2, v2, 0
	v_max_i16 v12, v12, 0
	v_bfe_i32 v13, v13, 0, 8
	v_add_nc_u16 v17, v42, v17
	v_bfe_i32 v22, v22, 0, 8
	v_and_b32_e32 v42, 0xffff, v2
	v_add_nc_u16 v2, v14, v15
	v_bfe_i32 v14, v16, 0, 8
	v_bfe_i32 v15, v17, 0, 8
	v_lshrrev_b32_e32 v17, 24, v36
	v_lshrrev_b32_e32 v16, 16, v36
	v_bfe_i32 v2, v2, 0, 8
	v_and_b32_e32 v12, 0xffff, v12
	v_max_i16 v13, v13, 0
	v_add_nc_u16 v17, v17, v19
	v_add_nc_u16 v16, v16, v18
	v_max_i16 v18, v2, 0
	v_mul_lo_u32 v2, v0, s34
	v_lshl_or_b32 v19, v24, 8, v23
	v_bfe_i32 v17, v17, 0, 8
	v_bfe_i32 v16, v16, 0, 8
	v_lshlrev_b32_e32 v23, 16, v25
	v_lshlrev_b32_e32 v24, 24, v30
	v_max_i16 v14, v14, 0
	v_max_i16 v15, v15, 0
	v_mad_co_u64_u32 v[0:1], null, v1, s35, v[2:3]
	v_max_i16 v2, v17, 0
	s_wait_alu 0xfffe
	v_cndmask_b32_e64 v17, 0x80000000, 0, s1
	v_cmp_gt_i32_e64 s1, s36, v26
	v_max_i16 v1, v16, 0
	v_or3_b32 v16, v19, v23, v24
	v_lshl_or_b32 v23, v37, 8, v27
	v_add_nc_u32_e32 v19, s3, v0
	s_and_b32 s0, s0, s1
	v_lshlrev_b32_e32 v3, 16, v3
	v_lshlrev_b32_e32 v24, 24, v60
	s_wait_alu 0xfffe
	v_cndmask_b32_e64 v25, 0x80000000, 0, s0
	v_cmp_gt_i32_e64 s0, s33, v28
	v_add_nc_u32_e32 v17, v17, v0
	v_add_nc_u32_e32 v0, s34, v0
	v_or3_b32 v3, v23, v3, v24
	v_add_nc_u32_e32 v23, v25, v19
	s_and_b32 s2, s0, s1
	s_clause 0x1
	buffer_store_b32 v16, v17, s[12:15], null offen
	buffer_store_b32 v3, v23, s[12:15], null offen
	v_cndmask_b32_e64 v16, 0x80000000, 0, s2
	v_cmp_gt_i32_e64 s2, s33, v41
	v_lshl_or_b32 v24, v49, 8, v31
	v_lshlrev_b32_e32 v25, 24, v61
	s_and_b32 s0, s0, vcc_lo
	v_add_nc_u32_e32 v3, s34, v19
	s_wait_alu 0xfffe
	v_cndmask_b32_e64 v19, 0x80000000, 0, s0
	s_and_b32 s0, s2, vcc_lo
	v_lshlrev_b32_e32 v17, 24, v52
	v_or3_b32 v5, v24, v5, v25
	v_lshlrev_b32_e32 v23, 24, v53
	s_wait_alu 0xfffe
	v_cndmask_b32_e64 v24, 0x80000000, 0, s0
	v_add_nc_u32_e32 v16, v16, v3
	v_add_nc_u32_e32 v3, s34, v3
	s_and_b32 s0, s2, s1
	v_or3_b32 v4, v4, v8, v17
	v_add_nc_u32_e32 v8, v0, v19
	v_or3_b32 v6, v6, v9, v23
	v_add3_u32 v0, v24, s34, v0
	s_wait_alu 0xfffe
	v_cndmask_b32_e64 v19, 0x80000000, 0, s0
	v_cmp_gt_i32_e64 s0, s33, v50
	v_lshl_or_b32 v9, v57, 8, v48
	v_lshlrev_b32_e32 v17, 24, v74
	s_clause 0x2
	buffer_store_b32 v5, v16, s[12:15], null offen
	buffer_store_b32 v4, v8, s[12:15], null offen
	;; [unrolled: 1-line block ×3, first 2 shown]
	v_add_nc_u32_e32 v5, s34, v3
	s_and_b32 s2, s0, s1
	s_and_b32 s0, s0, vcc_lo
	v_or3_b32 v0, v9, v7, v17
	v_add_nc_u32_e32 v4, v3, v19
	v_lshl_or_b32 v6, v70, 8, v54
	v_lshlrev_b32_e32 v7, 16, v11
	v_lshlrev_b32_e32 v8, 24, v71
	s_wait_alu 0xfffe
	v_cndmask_b32_e64 v9, 0x80000000, 0, s2
	v_subrev_nc_u32_e32 v11, s3, v5
	v_lshlrev_b32_e32 v16, 16, v56
	v_lshlrev_b32_e32 v17, 24, v75
	v_cndmask_b32_e64 v19, 0x80000000, 0, s0
	v_cmp_gt_i32_e64 s0, s33, v73
	buffer_store_b32 v0, v4, s[12:15], null offen
	v_or3_b32 v0, v6, v7, v8
	v_add_nc_u32_e32 v4, v5, v9
	v_or3_b32 v6, v10, v16, v17
	v_add_nc_u32_e32 v7, v11, v19
	s_and_b32 s4, s0, vcc_lo
	s_and_b32 s0, s0, s1
	s_clause 0x1
	buffer_store_b32 v0, v4, s[12:15], null offen
	buffer_store_b32 v6, v7, s[12:15], null offen
	v_cndmask_b32_e64 v7, 0x80000000, 0, s0
	v_cmp_ge_i32_e64 s0, s33, v73
	v_max_i16 v45, v45, 0
	v_max_i16 v22, v22, 0
	v_and_b32_e32 v14, 0xffff, v14
	v_and_b32_e32 v15, 0xffff, v15
	v_lshl_or_b32 v8, v42, 8, v12
	v_lshlrev_b32_e32 v9, 16, v13
	v_lshlrev_b32_e32 v10, 24, v18
	s_and_b32 s0, s0, s1
	v_lshl_or_b32 v6, v15, 8, v14
	s_wait_alu 0xfffe
	v_cndmask_b32_e64 v12, 0x80000000, 0, s0
	v_cmp_gt_i32_e64 s0, s33, v63
	v_or3_b32 v0, v8, v9, v10
	v_lshlrev_b32_e32 v1, 16, v1
	v_lshlrev_b32_e32 v2, 24, v2
	v_lshl_or_b32 v8, v64, 8, v47
	v_lshlrev_b32_e32 v9, 16, v45
	v_lshlrev_b32_e32 v10, 24, v22
	s_lshl_b32 s2, s34, 6
	v_cndmask_b32_e64 v4, 0x80000000, 0, s4
	s_and_b32 s0, s0, vcc_lo
	s_wait_alu 0xfffe
	v_add_nc_u32_e32 v3, s2, v3
	v_or3_b32 v1, v6, v1, v2
	v_add3_u32 v2, v5, s2, v7
	v_or3_b32 v5, v8, v9, v10
	v_cndmask_b32_e64 v10, 0x80000000, 0, s0
	v_cmp_ge_i32_e64 s0, s33, v63
	v_add3_u32 v4, v4, s2, v11
	v_add_nc_u32_e32 v6, v3, v12
	v_subrev_nc_u32_e32 v3, s3, v3
	s_clause 0x2
	buffer_store_b32 v0, v4, s[12:15], null offen
	buffer_store_b32 v1, v2, s[12:15], null offen
	;; [unrolled: 1-line block ×3, first 2 shown]
	s_and_b32 s0, s0, vcc_lo
	v_add_nc_u32_e32 v1, v3, v10
	s_wait_alu 0xfffe
	v_cndmask_b32_e64 v6, 0x80000000, 0, s0
	v_cmp_gt_i32_e64 s0, s33, v66
	v_subrev_nc_u32_e32 v2, s34, v3
	v_lshl_or_b32 v3, v34, 8, v33
	v_lshlrev_b32_e32 v4, 16, v62
	v_lshlrev_b32_e32 v5, 24, v77
	v_and_b32_e32 v21, 0xffff, v21
	v_max_i16 v44, v44, 0
	s_and_b32 s0, s0, s1
	v_and_b32_e32 v35, 0xffff, v35
	v_or3_b32 v3, v3, v4, v5
	v_add_nc_u32_e32 v4, s3, v2
	v_add_nc_u32_e32 v2, v2, v6
	s_wait_alu 0xfffe
	v_cndmask_b32_e64 v6, 0x80000000, 0, s0
	v_cmp_gt_i32_e64 s0, s33, v59
	v_max_i16 v40, v40, 0
	v_lshl_or_b32 v7, v21, 8, v68
	v_lshlrev_b32_e32 v8, 16, v69
	v_lshlrev_b32_e32 v9, 24, v44
	v_max_i16 v39, v39, 0
	v_max_i16 v55, v55, 0
	v_bfe_i32 v58, v58, 0, 8
	v_cmp_ge_i32_e64 s2, s33, v66
	s_and_b32 s0, s0, vcc_lo
	v_and_b32_e32 v32, 0xffff, v32
	v_or3_b32 v0, v7, v8, v9
	v_lshl_or_b32 v7, v65, 8, v35
	v_lshlrev_b32_e32 v8, 16, v40
	v_lshlrev_b32_e32 v9, 24, v72
	v_and_b32_e32 v39, 0xffff, v39
	v_and_b32_e32 v55, 0xffff, v55
	v_max_i16 v58, v58, 0
	s_wait_alu 0xfffe
	v_cndmask_b32_e64 v11, 0x80000000, 0, s0
	s_and_b32 s0, s2, s1
	v_or3_b32 v5, v7, v8, v9
	v_subrev_nc_u32_e32 v7, s34, v4
	v_lshl_or_b32 v8, v38, 8, v32
	v_lshlrev_b32_e32 v9, 16, v20
	v_lshlrev_b32_e32 v10, 24, v67
	s_wait_alu 0xfffe
	v_cndmask_b32_e64 v12, 0x80000000, 0, s0
	v_lshl_or_b32 v13, v55, 8, v39
	v_lshlrev_b32_e32 v14, 16, v58
	v_lshlrev_b32_e32 v15, 24, v76
	v_subrev_nc_u32_e32 v11, s3, v11
	v_add_nc_u32_e32 v4, v4, v6
	v_or3_b32 v6, v8, v9, v10
	v_add_nc_u32_e32 v8, v7, v12
	v_or3_b32 v9, v13, v14, v15
	v_add_nc_u32_e32 v7, v11, v7
	s_clause 0x4
	buffer_store_b32 v0, v1, s[12:15], null offen
	buffer_store_b32 v3, v2, s[12:15], null offen
	;; [unrolled: 1-line block ×5, first 2 shown]
	s_nop 0
	s_sendmsg sendmsg(MSG_DEALLOC_VGPRS)
	s_endpgm
	.section	.rodata,"a",@progbits
	.p2align	6, 0x0
	.amdhsa_kernel _ZN2ck16tensor_operation6device12_GLOBAL__N_137kernel_grouped_conv_fwd_dl_multiple_dINS_32GridwiseGemmDlMultipleD_km_kn_mnILi256EaiNS_5TupleIJaEEEaNS0_12element_wise11PassThroughES8_NS7_7AddReluELNS_25InMemoryDataOperationEnumE0ENS_16TensorDescriptorINS5_IJNS_5EmbedINS5_IJiiiEEESD_Lb0EEENS_11PassThroughIiEENS_3PadIiiiLb0EEESG_SG_NSC_INS5_IJiiEEESJ_Lb0EEESG_NS_23Merge_v2_magic_divisionISJ_EESM_NS_8RightPadIiiLb0EEESO_NS_7UnMergeISJ_Lb0EEESG_EEENS5_IJNS_8SequenceIJLi0EEEENSS_IJLi1EEEENSS_IJLi2EEEENSS_IJLi3EEEENSS_IJLi4EEEENSS_IJLi5EEEENSS_IJLi6EEEENSS_IJLi7ELi9EEEENSS_IJLi8ELi10EEEENSS_IJLi11EEEENSS_IJLi12EEEENSS_IJLi14EEEENSS_IJLi13EEEEEEENS5_IJNSS_IJLi1ELi2ELi3EEEESX_SY_SZ_NSS_IJLi7EEEENSS_IJLi8ELi9EEEENSS_IJLi10EEEES12_S13_S15_S14_NSS_IJLi15ELi16EEEENSS_IJLi17EEEEEEENSS_IJLi15ELi17ELi16EEEElEENSB_INS5_IJSQ_SO_SO_SQ_SG_EEENS5_IJST_SU_SV_SX_SW_EEENS5_IJNSS_IJLi1ELi2EEEESW_SX_NSS_IJLi5ELi6EEEES18_EEENSS_IJLi5ELi7ELi6EEEElEENSB_INS5_IJSK_SO_SO_EEENS5_IJST_SU_SV_EEENS5_IJS1I_SW_SX_EEENSS_IJLi3ELi4EEEElEELi128ELi128ELi16ELi4ELi4ELi4ELi1ENSS_IJLi8ELi2EEEES1S_NSS_IJLi8ELi1ELi1ELi4EEEENSS_IJLi2ELi1ELi128ELi1EEEENSS_IJLi1ELi2ELi0ELi3EEEES1V_NSS_IJLi4ELi1ELi1ELi4EEEES1V_NSS_IJLi1ELi1ELi1ELi4EEEES1T_S1U_S1V_S1V_S1W_S1V_S1X_NSS_IJLi0ELi1ELi2ELi3ELi4ELi5EEEELi5ELi4EEEaNS5_IJPKaEEEaS8_S8_S9_NSB_INS5_IJSE_SG_SI_SG_SG_SK_SG_SM_SM_SO_SO_SQ_SG_SG_NSP_INS5_IJiNS_17integral_constantIiLi128EEEEEELb0EEENSF_INS23_IiLi4EEEEEEEENS5_IJST_SU_SV_SW_SX_SY_SZ_S10_S11_S12_S13_S14_S15_NSS_IJLi15EEEES1C_NSS_IJLi16EEEEEEENS5_IJS17_SX_SY_SZ_S18_S19_S1A_S12_S13_S15_S14_S1B_S1C_NSS_IJLi18EEEENSS_IJLi19ELi20EEEENSS_IJLi21EEEEEEENSS_IJLi18ELi19ELi20ELi21EEEElEENSB_INS5_IJSQ_SO_SO_SQ_SG_SG_S26_S28_EEENS5_IJST_SU_SV_SX_SW_SY_S18_SZ_EEENS5_IJS1I_SW_SX_S1J_S18_NSS_IJLi8EEEENSS_IJLi9ELi10EEEES12_EEENSS_IJLi8ELi9ELi10ELi11EEEElEENS5_IJNSB_INS5_IJSK_SO_SO_NSP_INS5_IJiNS23_IiLi2EEENS23_IiLi64EEEEEELb0EEES2T_EEENS5_IJST_SU_SV_SW_SX_EEENS5_IJS1I_SW_SX_NSS_IJLi5ELi6ELi7EEEENSS_IJLi8ELi9ELi10EEEEEEENSS_IJLi5ELi6ELi7ELi8ELi9ELi10EEEElEEEEES30_NS_31BlockToCTileMap_M00_N00_M01_N01ILi128ELi128ES1R_Lb0EEENS1_30ComputePtrOffsetOfStridedBatchILi1ELi1ELi1EvEELb1ELb1EEEvPKT0_S38_T1_PT2_T3_T4_T5_iT6_T7_T8_T9_T10_T11_
		.amdhsa_group_segment_fixed_size 32768
		.amdhsa_private_segment_fixed_size 0
		.amdhsa_kernarg_size 904
		.amdhsa_user_sgpr_count 2
		.amdhsa_user_sgpr_dispatch_ptr 0
		.amdhsa_user_sgpr_queue_ptr 0
		.amdhsa_user_sgpr_kernarg_segment_ptr 1
		.amdhsa_user_sgpr_dispatch_id 0
		.amdhsa_user_sgpr_private_segment_size 0
		.amdhsa_wavefront_size32 1
		.amdhsa_uses_dynamic_stack 0
		.amdhsa_enable_private_segment 0
		.amdhsa_system_sgpr_workgroup_id_x 1
		.amdhsa_system_sgpr_workgroup_id_y 0
		.amdhsa_system_sgpr_workgroup_id_z 0
		.amdhsa_system_sgpr_workgroup_info 0
		.amdhsa_system_vgpr_workitem_id 0
		.amdhsa_next_free_vgpr 202
		.amdhsa_next_free_sgpr 65
		.amdhsa_reserve_vcc 1
		.amdhsa_float_round_mode_32 0
		.amdhsa_float_round_mode_16_64 0
		.amdhsa_float_denorm_mode_32 3
		.amdhsa_float_denorm_mode_16_64 3
		.amdhsa_fp16_overflow 0
		.amdhsa_workgroup_processor_mode 1
		.amdhsa_memory_ordered 1
		.amdhsa_forward_progress 1
		.amdhsa_inst_pref_size 255
		.amdhsa_round_robin_scheduling 0
		.amdhsa_exception_fp_ieee_invalid_op 0
		.amdhsa_exception_fp_denorm_src 0
		.amdhsa_exception_fp_ieee_div_zero 0
		.amdhsa_exception_fp_ieee_overflow 0
		.amdhsa_exception_fp_ieee_underflow 0
		.amdhsa_exception_fp_ieee_inexact 0
		.amdhsa_exception_int_div_zero 0
	.end_amdhsa_kernel
	.section	.text._ZN2ck16tensor_operation6device12_GLOBAL__N_137kernel_grouped_conv_fwd_dl_multiple_dINS_32GridwiseGemmDlMultipleD_km_kn_mnILi256EaiNS_5TupleIJaEEEaNS0_12element_wise11PassThroughES8_NS7_7AddReluELNS_25InMemoryDataOperationEnumE0ENS_16TensorDescriptorINS5_IJNS_5EmbedINS5_IJiiiEEESD_Lb0EEENS_11PassThroughIiEENS_3PadIiiiLb0EEESG_SG_NSC_INS5_IJiiEEESJ_Lb0EEESG_NS_23Merge_v2_magic_divisionISJ_EESM_NS_8RightPadIiiLb0EEESO_NS_7UnMergeISJ_Lb0EEESG_EEENS5_IJNS_8SequenceIJLi0EEEENSS_IJLi1EEEENSS_IJLi2EEEENSS_IJLi3EEEENSS_IJLi4EEEENSS_IJLi5EEEENSS_IJLi6EEEENSS_IJLi7ELi9EEEENSS_IJLi8ELi10EEEENSS_IJLi11EEEENSS_IJLi12EEEENSS_IJLi14EEEENSS_IJLi13EEEEEEENS5_IJNSS_IJLi1ELi2ELi3EEEESX_SY_SZ_NSS_IJLi7EEEENSS_IJLi8ELi9EEEENSS_IJLi10EEEES12_S13_S15_S14_NSS_IJLi15ELi16EEEENSS_IJLi17EEEEEEENSS_IJLi15ELi17ELi16EEEElEENSB_INS5_IJSQ_SO_SO_SQ_SG_EEENS5_IJST_SU_SV_SX_SW_EEENS5_IJNSS_IJLi1ELi2EEEESW_SX_NSS_IJLi5ELi6EEEES18_EEENSS_IJLi5ELi7ELi6EEEElEENSB_INS5_IJSK_SO_SO_EEENS5_IJST_SU_SV_EEENS5_IJS1I_SW_SX_EEENSS_IJLi3ELi4EEEElEELi128ELi128ELi16ELi4ELi4ELi4ELi1ENSS_IJLi8ELi2EEEES1S_NSS_IJLi8ELi1ELi1ELi4EEEENSS_IJLi2ELi1ELi128ELi1EEEENSS_IJLi1ELi2ELi0ELi3EEEES1V_NSS_IJLi4ELi1ELi1ELi4EEEES1V_NSS_IJLi1ELi1ELi1ELi4EEEES1T_S1U_S1V_S1V_S1W_S1V_S1X_NSS_IJLi0ELi1ELi2ELi3ELi4ELi5EEEELi5ELi4EEEaNS5_IJPKaEEEaS8_S8_S9_NSB_INS5_IJSE_SG_SI_SG_SG_SK_SG_SM_SM_SO_SO_SQ_SG_SG_NSP_INS5_IJiNS_17integral_constantIiLi128EEEEEELb0EEENSF_INS23_IiLi4EEEEEEEENS5_IJST_SU_SV_SW_SX_SY_SZ_S10_S11_S12_S13_S14_S15_NSS_IJLi15EEEES1C_NSS_IJLi16EEEEEEENS5_IJS17_SX_SY_SZ_S18_S19_S1A_S12_S13_S15_S14_S1B_S1C_NSS_IJLi18EEEENSS_IJLi19ELi20EEEENSS_IJLi21EEEEEEENSS_IJLi18ELi19ELi20ELi21EEEElEENSB_INS5_IJSQ_SO_SO_SQ_SG_SG_S26_S28_EEENS5_IJST_SU_SV_SX_SW_SY_S18_SZ_EEENS5_IJS1I_SW_SX_S1J_S18_NSS_IJLi8EEEENSS_IJLi9ELi10EEEES12_EEENSS_IJLi8ELi9ELi10ELi11EEEElEENS5_IJNSB_INS5_IJSK_SO_SO_NSP_INS5_IJiNS23_IiLi2EEENS23_IiLi64EEEEEELb0EEES2T_EEENS5_IJST_SU_SV_SW_SX_EEENS5_IJS1I_SW_SX_NSS_IJLi5ELi6ELi7EEEENSS_IJLi8ELi9ELi10EEEEEEENSS_IJLi5ELi6ELi7ELi8ELi9ELi10EEEElEEEEES30_NS_31BlockToCTileMap_M00_N00_M01_N01ILi128ELi128ES1R_Lb0EEENS1_30ComputePtrOffsetOfStridedBatchILi1ELi1ELi1EvEELb1ELb1EEEvPKT0_S38_T1_PT2_T3_T4_T5_iT6_T7_T8_T9_T10_T11_,"axG",@progbits,_ZN2ck16tensor_operation6device12_GLOBAL__N_137kernel_grouped_conv_fwd_dl_multiple_dINS_32GridwiseGemmDlMultipleD_km_kn_mnILi256EaiNS_5TupleIJaEEEaNS0_12element_wise11PassThroughES8_NS7_7AddReluELNS_25InMemoryDataOperationEnumE0ENS_16TensorDescriptorINS5_IJNS_5EmbedINS5_IJiiiEEESD_Lb0EEENS_11PassThroughIiEENS_3PadIiiiLb0EEESG_SG_NSC_INS5_IJiiEEESJ_Lb0EEESG_NS_23Merge_v2_magic_divisionISJ_EESM_NS_8RightPadIiiLb0EEESO_NS_7UnMergeISJ_Lb0EEESG_EEENS5_IJNS_8SequenceIJLi0EEEENSS_IJLi1EEEENSS_IJLi2EEEENSS_IJLi3EEEENSS_IJLi4EEEENSS_IJLi5EEEENSS_IJLi6EEEENSS_IJLi7ELi9EEEENSS_IJLi8ELi10EEEENSS_IJLi11EEEENSS_IJLi12EEEENSS_IJLi14EEEENSS_IJLi13EEEEEEENS5_IJNSS_IJLi1ELi2ELi3EEEESX_SY_SZ_NSS_IJLi7EEEENSS_IJLi8ELi9EEEENSS_IJLi10EEEES12_S13_S15_S14_NSS_IJLi15ELi16EEEENSS_IJLi17EEEEEEENSS_IJLi15ELi17ELi16EEEElEENSB_INS5_IJSQ_SO_SO_SQ_SG_EEENS5_IJST_SU_SV_SX_SW_EEENS5_IJNSS_IJLi1ELi2EEEESW_SX_NSS_IJLi5ELi6EEEES18_EEENSS_IJLi5ELi7ELi6EEEElEENSB_INS5_IJSK_SO_SO_EEENS5_IJST_SU_SV_EEENS5_IJS1I_SW_SX_EEENSS_IJLi3ELi4EEEElEELi128ELi128ELi16ELi4ELi4ELi4ELi1ENSS_IJLi8ELi2EEEES1S_NSS_IJLi8ELi1ELi1ELi4EEEENSS_IJLi2ELi1ELi128ELi1EEEENSS_IJLi1ELi2ELi0ELi3EEEES1V_NSS_IJLi4ELi1ELi1ELi4EEEES1V_NSS_IJLi1ELi1ELi1ELi4EEEES1T_S1U_S1V_S1V_S1W_S1V_S1X_NSS_IJLi0ELi1ELi2ELi3ELi4ELi5EEEELi5ELi4EEEaNS5_IJPKaEEEaS8_S8_S9_NSB_INS5_IJSE_SG_SI_SG_SG_SK_SG_SM_SM_SO_SO_SQ_SG_SG_NSP_INS5_IJiNS_17integral_constantIiLi128EEEEEELb0EEENSF_INS23_IiLi4EEEEEEEENS5_IJST_SU_SV_SW_SX_SY_SZ_S10_S11_S12_S13_S14_S15_NSS_IJLi15EEEES1C_NSS_IJLi16EEEEEEENS5_IJS17_SX_SY_SZ_S18_S19_S1A_S12_S13_S15_S14_S1B_S1C_NSS_IJLi18EEEENSS_IJLi19ELi20EEEENSS_IJLi21EEEEEEENSS_IJLi18ELi19ELi20ELi21EEEElEENSB_INS5_IJSQ_SO_SO_SQ_SG_SG_S26_S28_EEENS5_IJST_SU_SV_SX_SW_SY_S18_SZ_EEENS5_IJS1I_SW_SX_S1J_S18_NSS_IJLi8EEEENSS_IJLi9ELi10EEEES12_EEENSS_IJLi8ELi9ELi10ELi11EEEElEENS5_IJNSB_INS5_IJSK_SO_SO_NSP_INS5_IJiNS23_IiLi2EEENS23_IiLi64EEEEEELb0EEES2T_EEENS5_IJST_SU_SV_SW_SX_EEENS5_IJS1I_SW_SX_NSS_IJLi5ELi6ELi7EEEENSS_IJLi8ELi9ELi10EEEEEEENSS_IJLi5ELi6ELi7ELi8ELi9ELi10EEEElEEEEES30_NS_31BlockToCTileMap_M00_N00_M01_N01ILi128ELi128ES1R_Lb0EEENS1_30ComputePtrOffsetOfStridedBatchILi1ELi1ELi1EvEELb1ELb1EEEvPKT0_S38_T1_PT2_T3_T4_T5_iT6_T7_T8_T9_T10_T11_,comdat
.Lfunc_end1:
	.size	_ZN2ck16tensor_operation6device12_GLOBAL__N_137kernel_grouped_conv_fwd_dl_multiple_dINS_32GridwiseGemmDlMultipleD_km_kn_mnILi256EaiNS_5TupleIJaEEEaNS0_12element_wise11PassThroughES8_NS7_7AddReluELNS_25InMemoryDataOperationEnumE0ENS_16TensorDescriptorINS5_IJNS_5EmbedINS5_IJiiiEEESD_Lb0EEENS_11PassThroughIiEENS_3PadIiiiLb0EEESG_SG_NSC_INS5_IJiiEEESJ_Lb0EEESG_NS_23Merge_v2_magic_divisionISJ_EESM_NS_8RightPadIiiLb0EEESO_NS_7UnMergeISJ_Lb0EEESG_EEENS5_IJNS_8SequenceIJLi0EEEENSS_IJLi1EEEENSS_IJLi2EEEENSS_IJLi3EEEENSS_IJLi4EEEENSS_IJLi5EEEENSS_IJLi6EEEENSS_IJLi7ELi9EEEENSS_IJLi8ELi10EEEENSS_IJLi11EEEENSS_IJLi12EEEENSS_IJLi14EEEENSS_IJLi13EEEEEEENS5_IJNSS_IJLi1ELi2ELi3EEEESX_SY_SZ_NSS_IJLi7EEEENSS_IJLi8ELi9EEEENSS_IJLi10EEEES12_S13_S15_S14_NSS_IJLi15ELi16EEEENSS_IJLi17EEEEEEENSS_IJLi15ELi17ELi16EEEElEENSB_INS5_IJSQ_SO_SO_SQ_SG_EEENS5_IJST_SU_SV_SX_SW_EEENS5_IJNSS_IJLi1ELi2EEEESW_SX_NSS_IJLi5ELi6EEEES18_EEENSS_IJLi5ELi7ELi6EEEElEENSB_INS5_IJSK_SO_SO_EEENS5_IJST_SU_SV_EEENS5_IJS1I_SW_SX_EEENSS_IJLi3ELi4EEEElEELi128ELi128ELi16ELi4ELi4ELi4ELi1ENSS_IJLi8ELi2EEEES1S_NSS_IJLi8ELi1ELi1ELi4EEEENSS_IJLi2ELi1ELi128ELi1EEEENSS_IJLi1ELi2ELi0ELi3EEEES1V_NSS_IJLi4ELi1ELi1ELi4EEEES1V_NSS_IJLi1ELi1ELi1ELi4EEEES1T_S1U_S1V_S1V_S1W_S1V_S1X_NSS_IJLi0ELi1ELi2ELi3ELi4ELi5EEEELi5ELi4EEEaNS5_IJPKaEEEaS8_S8_S9_NSB_INS5_IJSE_SG_SI_SG_SG_SK_SG_SM_SM_SO_SO_SQ_SG_SG_NSP_INS5_IJiNS_17integral_constantIiLi128EEEEEELb0EEENSF_INS23_IiLi4EEEEEEEENS5_IJST_SU_SV_SW_SX_SY_SZ_S10_S11_S12_S13_S14_S15_NSS_IJLi15EEEES1C_NSS_IJLi16EEEEEEENS5_IJS17_SX_SY_SZ_S18_S19_S1A_S12_S13_S15_S14_S1B_S1C_NSS_IJLi18EEEENSS_IJLi19ELi20EEEENSS_IJLi21EEEEEEENSS_IJLi18ELi19ELi20ELi21EEEElEENSB_INS5_IJSQ_SO_SO_SQ_SG_SG_S26_S28_EEENS5_IJST_SU_SV_SX_SW_SY_S18_SZ_EEENS5_IJS1I_SW_SX_S1J_S18_NSS_IJLi8EEEENSS_IJLi9ELi10EEEES12_EEENSS_IJLi8ELi9ELi10ELi11EEEElEENS5_IJNSB_INS5_IJSK_SO_SO_NSP_INS5_IJiNS23_IiLi2EEENS23_IiLi64EEEEEELb0EEES2T_EEENS5_IJST_SU_SV_SW_SX_EEENS5_IJS1I_SW_SX_NSS_IJLi5ELi6ELi7EEEENSS_IJLi8ELi9ELi10EEEEEEENSS_IJLi5ELi6ELi7ELi8ELi9ELi10EEEElEEEEES30_NS_31BlockToCTileMap_M00_N00_M01_N01ILi128ELi128ES1R_Lb0EEENS1_30ComputePtrOffsetOfStridedBatchILi1ELi1ELi1EvEELb1ELb1EEEvPKT0_S38_T1_PT2_T3_T4_T5_iT6_T7_T8_T9_T10_T11_, .Lfunc_end1-_ZN2ck16tensor_operation6device12_GLOBAL__N_137kernel_grouped_conv_fwd_dl_multiple_dINS_32GridwiseGemmDlMultipleD_km_kn_mnILi256EaiNS_5TupleIJaEEEaNS0_12element_wise11PassThroughES8_NS7_7AddReluELNS_25InMemoryDataOperationEnumE0ENS_16TensorDescriptorINS5_IJNS_5EmbedINS5_IJiiiEEESD_Lb0EEENS_11PassThroughIiEENS_3PadIiiiLb0EEESG_SG_NSC_INS5_IJiiEEESJ_Lb0EEESG_NS_23Merge_v2_magic_divisionISJ_EESM_NS_8RightPadIiiLb0EEESO_NS_7UnMergeISJ_Lb0EEESG_EEENS5_IJNS_8SequenceIJLi0EEEENSS_IJLi1EEEENSS_IJLi2EEEENSS_IJLi3EEEENSS_IJLi4EEEENSS_IJLi5EEEENSS_IJLi6EEEENSS_IJLi7ELi9EEEENSS_IJLi8ELi10EEEENSS_IJLi11EEEENSS_IJLi12EEEENSS_IJLi14EEEENSS_IJLi13EEEEEEENS5_IJNSS_IJLi1ELi2ELi3EEEESX_SY_SZ_NSS_IJLi7EEEENSS_IJLi8ELi9EEEENSS_IJLi10EEEES12_S13_S15_S14_NSS_IJLi15ELi16EEEENSS_IJLi17EEEEEEENSS_IJLi15ELi17ELi16EEEElEENSB_INS5_IJSQ_SO_SO_SQ_SG_EEENS5_IJST_SU_SV_SX_SW_EEENS5_IJNSS_IJLi1ELi2EEEESW_SX_NSS_IJLi5ELi6EEEES18_EEENSS_IJLi5ELi7ELi6EEEElEENSB_INS5_IJSK_SO_SO_EEENS5_IJST_SU_SV_EEENS5_IJS1I_SW_SX_EEENSS_IJLi3ELi4EEEElEELi128ELi128ELi16ELi4ELi4ELi4ELi1ENSS_IJLi8ELi2EEEES1S_NSS_IJLi8ELi1ELi1ELi4EEEENSS_IJLi2ELi1ELi128ELi1EEEENSS_IJLi1ELi2ELi0ELi3EEEES1V_NSS_IJLi4ELi1ELi1ELi4EEEES1V_NSS_IJLi1ELi1ELi1ELi4EEEES1T_S1U_S1V_S1V_S1W_S1V_S1X_NSS_IJLi0ELi1ELi2ELi3ELi4ELi5EEEELi5ELi4EEEaNS5_IJPKaEEEaS8_S8_S9_NSB_INS5_IJSE_SG_SI_SG_SG_SK_SG_SM_SM_SO_SO_SQ_SG_SG_NSP_INS5_IJiNS_17integral_constantIiLi128EEEEEELb0EEENSF_INS23_IiLi4EEEEEEEENS5_IJST_SU_SV_SW_SX_SY_SZ_S10_S11_S12_S13_S14_S15_NSS_IJLi15EEEES1C_NSS_IJLi16EEEEEEENS5_IJS17_SX_SY_SZ_S18_S19_S1A_S12_S13_S15_S14_S1B_S1C_NSS_IJLi18EEEENSS_IJLi19ELi20EEEENSS_IJLi21EEEEEEENSS_IJLi18ELi19ELi20ELi21EEEElEENSB_INS5_IJSQ_SO_SO_SQ_SG_SG_S26_S28_EEENS5_IJST_SU_SV_SX_SW_SY_S18_SZ_EEENS5_IJS1I_SW_SX_S1J_S18_NSS_IJLi8EEEENSS_IJLi9ELi10EEEES12_EEENSS_IJLi8ELi9ELi10ELi11EEEElEENS5_IJNSB_INS5_IJSK_SO_SO_NSP_INS5_IJiNS23_IiLi2EEENS23_IiLi64EEEEEELb0EEES2T_EEENS5_IJST_SU_SV_SW_SX_EEENS5_IJS1I_SW_SX_NSS_IJLi5ELi6ELi7EEEENSS_IJLi8ELi9ELi10EEEEEEENSS_IJLi5ELi6ELi7ELi8ELi9ELi10EEEElEEEEES30_NS_31BlockToCTileMap_M00_N00_M01_N01ILi128ELi128ES1R_Lb0EEENS1_30ComputePtrOffsetOfStridedBatchILi1ELi1ELi1EvEELb1ELb1EEEvPKT0_S38_T1_PT2_T3_T4_T5_iT6_T7_T8_T9_T10_T11_
                                        ; -- End function
	.set _ZN2ck16tensor_operation6device12_GLOBAL__N_137kernel_grouped_conv_fwd_dl_multiple_dINS_32GridwiseGemmDlMultipleD_km_kn_mnILi256EaiNS_5TupleIJaEEEaNS0_12element_wise11PassThroughES8_NS7_7AddReluELNS_25InMemoryDataOperationEnumE0ENS_16TensorDescriptorINS5_IJNS_5EmbedINS5_IJiiiEEESD_Lb0EEENS_11PassThroughIiEENS_3PadIiiiLb0EEESG_SG_NSC_INS5_IJiiEEESJ_Lb0EEESG_NS_23Merge_v2_magic_divisionISJ_EESM_NS_8RightPadIiiLb0EEESO_NS_7UnMergeISJ_Lb0EEESG_EEENS5_IJNS_8SequenceIJLi0EEEENSS_IJLi1EEEENSS_IJLi2EEEENSS_IJLi3EEEENSS_IJLi4EEEENSS_IJLi5EEEENSS_IJLi6EEEENSS_IJLi7ELi9EEEENSS_IJLi8ELi10EEEENSS_IJLi11EEEENSS_IJLi12EEEENSS_IJLi14EEEENSS_IJLi13EEEEEEENS5_IJNSS_IJLi1ELi2ELi3EEEESX_SY_SZ_NSS_IJLi7EEEENSS_IJLi8ELi9EEEENSS_IJLi10EEEES12_S13_S15_S14_NSS_IJLi15ELi16EEEENSS_IJLi17EEEEEEENSS_IJLi15ELi17ELi16EEEElEENSB_INS5_IJSQ_SO_SO_SQ_SG_EEENS5_IJST_SU_SV_SX_SW_EEENS5_IJNSS_IJLi1ELi2EEEESW_SX_NSS_IJLi5ELi6EEEES18_EEENSS_IJLi5ELi7ELi6EEEElEENSB_INS5_IJSK_SO_SO_EEENS5_IJST_SU_SV_EEENS5_IJS1I_SW_SX_EEENSS_IJLi3ELi4EEEElEELi128ELi128ELi16ELi4ELi4ELi4ELi1ENSS_IJLi8ELi2EEEES1S_NSS_IJLi8ELi1ELi1ELi4EEEENSS_IJLi2ELi1ELi128ELi1EEEENSS_IJLi1ELi2ELi0ELi3EEEES1V_NSS_IJLi4ELi1ELi1ELi4EEEES1V_NSS_IJLi1ELi1ELi1ELi4EEEES1T_S1U_S1V_S1V_S1W_S1V_S1X_NSS_IJLi0ELi1ELi2ELi3ELi4ELi5EEEELi5ELi4EEEaNS5_IJPKaEEEaS8_S8_S9_NSB_INS5_IJSE_SG_SI_SG_SG_SK_SG_SM_SM_SO_SO_SQ_SG_SG_NSP_INS5_IJiNS_17integral_constantIiLi128EEEEEELb0EEENSF_INS23_IiLi4EEEEEEEENS5_IJST_SU_SV_SW_SX_SY_SZ_S10_S11_S12_S13_S14_S15_NSS_IJLi15EEEES1C_NSS_IJLi16EEEEEEENS5_IJS17_SX_SY_SZ_S18_S19_S1A_S12_S13_S15_S14_S1B_S1C_NSS_IJLi18EEEENSS_IJLi19ELi20EEEENSS_IJLi21EEEEEEENSS_IJLi18ELi19ELi20ELi21EEEElEENSB_INS5_IJSQ_SO_SO_SQ_SG_SG_S26_S28_EEENS5_IJST_SU_SV_SX_SW_SY_S18_SZ_EEENS5_IJS1I_SW_SX_S1J_S18_NSS_IJLi8EEEENSS_IJLi9ELi10EEEES12_EEENSS_IJLi8ELi9ELi10ELi11EEEElEENS5_IJNSB_INS5_IJSK_SO_SO_NSP_INS5_IJiNS23_IiLi2EEENS23_IiLi64EEEEEELb0EEES2T_EEENS5_IJST_SU_SV_SW_SX_EEENS5_IJS1I_SW_SX_NSS_IJLi5ELi6ELi7EEEENSS_IJLi8ELi9ELi10EEEEEEENSS_IJLi5ELi6ELi7ELi8ELi9ELi10EEEElEEEEES30_NS_31BlockToCTileMap_M00_N00_M01_N01ILi128ELi128ES1R_Lb0EEENS1_30ComputePtrOffsetOfStridedBatchILi1ELi1ELi1EvEELb1ELb1EEEvPKT0_S38_T1_PT2_T3_T4_T5_iT6_T7_T8_T9_T10_T11_.num_vgpr, 202
	.set _ZN2ck16tensor_operation6device12_GLOBAL__N_137kernel_grouped_conv_fwd_dl_multiple_dINS_32GridwiseGemmDlMultipleD_km_kn_mnILi256EaiNS_5TupleIJaEEEaNS0_12element_wise11PassThroughES8_NS7_7AddReluELNS_25InMemoryDataOperationEnumE0ENS_16TensorDescriptorINS5_IJNS_5EmbedINS5_IJiiiEEESD_Lb0EEENS_11PassThroughIiEENS_3PadIiiiLb0EEESG_SG_NSC_INS5_IJiiEEESJ_Lb0EEESG_NS_23Merge_v2_magic_divisionISJ_EESM_NS_8RightPadIiiLb0EEESO_NS_7UnMergeISJ_Lb0EEESG_EEENS5_IJNS_8SequenceIJLi0EEEENSS_IJLi1EEEENSS_IJLi2EEEENSS_IJLi3EEEENSS_IJLi4EEEENSS_IJLi5EEEENSS_IJLi6EEEENSS_IJLi7ELi9EEEENSS_IJLi8ELi10EEEENSS_IJLi11EEEENSS_IJLi12EEEENSS_IJLi14EEEENSS_IJLi13EEEEEEENS5_IJNSS_IJLi1ELi2ELi3EEEESX_SY_SZ_NSS_IJLi7EEEENSS_IJLi8ELi9EEEENSS_IJLi10EEEES12_S13_S15_S14_NSS_IJLi15ELi16EEEENSS_IJLi17EEEEEEENSS_IJLi15ELi17ELi16EEEElEENSB_INS5_IJSQ_SO_SO_SQ_SG_EEENS5_IJST_SU_SV_SX_SW_EEENS5_IJNSS_IJLi1ELi2EEEESW_SX_NSS_IJLi5ELi6EEEES18_EEENSS_IJLi5ELi7ELi6EEEElEENSB_INS5_IJSK_SO_SO_EEENS5_IJST_SU_SV_EEENS5_IJS1I_SW_SX_EEENSS_IJLi3ELi4EEEElEELi128ELi128ELi16ELi4ELi4ELi4ELi1ENSS_IJLi8ELi2EEEES1S_NSS_IJLi8ELi1ELi1ELi4EEEENSS_IJLi2ELi1ELi128ELi1EEEENSS_IJLi1ELi2ELi0ELi3EEEES1V_NSS_IJLi4ELi1ELi1ELi4EEEES1V_NSS_IJLi1ELi1ELi1ELi4EEEES1T_S1U_S1V_S1V_S1W_S1V_S1X_NSS_IJLi0ELi1ELi2ELi3ELi4ELi5EEEELi5ELi4EEEaNS5_IJPKaEEEaS8_S8_S9_NSB_INS5_IJSE_SG_SI_SG_SG_SK_SG_SM_SM_SO_SO_SQ_SG_SG_NSP_INS5_IJiNS_17integral_constantIiLi128EEEEEELb0EEENSF_INS23_IiLi4EEEEEEEENS5_IJST_SU_SV_SW_SX_SY_SZ_S10_S11_S12_S13_S14_S15_NSS_IJLi15EEEES1C_NSS_IJLi16EEEEEEENS5_IJS17_SX_SY_SZ_S18_S19_S1A_S12_S13_S15_S14_S1B_S1C_NSS_IJLi18EEEENSS_IJLi19ELi20EEEENSS_IJLi21EEEEEEENSS_IJLi18ELi19ELi20ELi21EEEElEENSB_INS5_IJSQ_SO_SO_SQ_SG_SG_S26_S28_EEENS5_IJST_SU_SV_SX_SW_SY_S18_SZ_EEENS5_IJS1I_SW_SX_S1J_S18_NSS_IJLi8EEEENSS_IJLi9ELi10EEEES12_EEENSS_IJLi8ELi9ELi10ELi11EEEElEENS5_IJNSB_INS5_IJSK_SO_SO_NSP_INS5_IJiNS23_IiLi2EEENS23_IiLi64EEEEEELb0EEES2T_EEENS5_IJST_SU_SV_SW_SX_EEENS5_IJS1I_SW_SX_NSS_IJLi5ELi6ELi7EEEENSS_IJLi8ELi9ELi10EEEEEEENSS_IJLi5ELi6ELi7ELi8ELi9ELi10EEEElEEEEES30_NS_31BlockToCTileMap_M00_N00_M01_N01ILi128ELi128ES1R_Lb0EEENS1_30ComputePtrOffsetOfStridedBatchILi1ELi1ELi1EvEELb1ELb1EEEvPKT0_S38_T1_PT2_T3_T4_T5_iT6_T7_T8_T9_T10_T11_.num_agpr, 0
	.set _ZN2ck16tensor_operation6device12_GLOBAL__N_137kernel_grouped_conv_fwd_dl_multiple_dINS_32GridwiseGemmDlMultipleD_km_kn_mnILi256EaiNS_5TupleIJaEEEaNS0_12element_wise11PassThroughES8_NS7_7AddReluELNS_25InMemoryDataOperationEnumE0ENS_16TensorDescriptorINS5_IJNS_5EmbedINS5_IJiiiEEESD_Lb0EEENS_11PassThroughIiEENS_3PadIiiiLb0EEESG_SG_NSC_INS5_IJiiEEESJ_Lb0EEESG_NS_23Merge_v2_magic_divisionISJ_EESM_NS_8RightPadIiiLb0EEESO_NS_7UnMergeISJ_Lb0EEESG_EEENS5_IJNS_8SequenceIJLi0EEEENSS_IJLi1EEEENSS_IJLi2EEEENSS_IJLi3EEEENSS_IJLi4EEEENSS_IJLi5EEEENSS_IJLi6EEEENSS_IJLi7ELi9EEEENSS_IJLi8ELi10EEEENSS_IJLi11EEEENSS_IJLi12EEEENSS_IJLi14EEEENSS_IJLi13EEEEEEENS5_IJNSS_IJLi1ELi2ELi3EEEESX_SY_SZ_NSS_IJLi7EEEENSS_IJLi8ELi9EEEENSS_IJLi10EEEES12_S13_S15_S14_NSS_IJLi15ELi16EEEENSS_IJLi17EEEEEEENSS_IJLi15ELi17ELi16EEEElEENSB_INS5_IJSQ_SO_SO_SQ_SG_EEENS5_IJST_SU_SV_SX_SW_EEENS5_IJNSS_IJLi1ELi2EEEESW_SX_NSS_IJLi5ELi6EEEES18_EEENSS_IJLi5ELi7ELi6EEEElEENSB_INS5_IJSK_SO_SO_EEENS5_IJST_SU_SV_EEENS5_IJS1I_SW_SX_EEENSS_IJLi3ELi4EEEElEELi128ELi128ELi16ELi4ELi4ELi4ELi1ENSS_IJLi8ELi2EEEES1S_NSS_IJLi8ELi1ELi1ELi4EEEENSS_IJLi2ELi1ELi128ELi1EEEENSS_IJLi1ELi2ELi0ELi3EEEES1V_NSS_IJLi4ELi1ELi1ELi4EEEES1V_NSS_IJLi1ELi1ELi1ELi4EEEES1T_S1U_S1V_S1V_S1W_S1V_S1X_NSS_IJLi0ELi1ELi2ELi3ELi4ELi5EEEELi5ELi4EEEaNS5_IJPKaEEEaS8_S8_S9_NSB_INS5_IJSE_SG_SI_SG_SG_SK_SG_SM_SM_SO_SO_SQ_SG_SG_NSP_INS5_IJiNS_17integral_constantIiLi128EEEEEELb0EEENSF_INS23_IiLi4EEEEEEEENS5_IJST_SU_SV_SW_SX_SY_SZ_S10_S11_S12_S13_S14_S15_NSS_IJLi15EEEES1C_NSS_IJLi16EEEEEEENS5_IJS17_SX_SY_SZ_S18_S19_S1A_S12_S13_S15_S14_S1B_S1C_NSS_IJLi18EEEENSS_IJLi19ELi20EEEENSS_IJLi21EEEEEEENSS_IJLi18ELi19ELi20ELi21EEEElEENSB_INS5_IJSQ_SO_SO_SQ_SG_SG_S26_S28_EEENS5_IJST_SU_SV_SX_SW_SY_S18_SZ_EEENS5_IJS1I_SW_SX_S1J_S18_NSS_IJLi8EEEENSS_IJLi9ELi10EEEES12_EEENSS_IJLi8ELi9ELi10ELi11EEEElEENS5_IJNSB_INS5_IJSK_SO_SO_NSP_INS5_IJiNS23_IiLi2EEENS23_IiLi64EEEEEELb0EEES2T_EEENS5_IJST_SU_SV_SW_SX_EEENS5_IJS1I_SW_SX_NSS_IJLi5ELi6ELi7EEEENSS_IJLi8ELi9ELi10EEEEEEENSS_IJLi5ELi6ELi7ELi8ELi9ELi10EEEElEEEEES30_NS_31BlockToCTileMap_M00_N00_M01_N01ILi128ELi128ES1R_Lb0EEENS1_30ComputePtrOffsetOfStridedBatchILi1ELi1ELi1EvEELb1ELb1EEEvPKT0_S38_T1_PT2_T3_T4_T5_iT6_T7_T8_T9_T10_T11_.numbered_sgpr, 65
	.set _ZN2ck16tensor_operation6device12_GLOBAL__N_137kernel_grouped_conv_fwd_dl_multiple_dINS_32GridwiseGemmDlMultipleD_km_kn_mnILi256EaiNS_5TupleIJaEEEaNS0_12element_wise11PassThroughES8_NS7_7AddReluELNS_25InMemoryDataOperationEnumE0ENS_16TensorDescriptorINS5_IJNS_5EmbedINS5_IJiiiEEESD_Lb0EEENS_11PassThroughIiEENS_3PadIiiiLb0EEESG_SG_NSC_INS5_IJiiEEESJ_Lb0EEESG_NS_23Merge_v2_magic_divisionISJ_EESM_NS_8RightPadIiiLb0EEESO_NS_7UnMergeISJ_Lb0EEESG_EEENS5_IJNS_8SequenceIJLi0EEEENSS_IJLi1EEEENSS_IJLi2EEEENSS_IJLi3EEEENSS_IJLi4EEEENSS_IJLi5EEEENSS_IJLi6EEEENSS_IJLi7ELi9EEEENSS_IJLi8ELi10EEEENSS_IJLi11EEEENSS_IJLi12EEEENSS_IJLi14EEEENSS_IJLi13EEEEEEENS5_IJNSS_IJLi1ELi2ELi3EEEESX_SY_SZ_NSS_IJLi7EEEENSS_IJLi8ELi9EEEENSS_IJLi10EEEES12_S13_S15_S14_NSS_IJLi15ELi16EEEENSS_IJLi17EEEEEEENSS_IJLi15ELi17ELi16EEEElEENSB_INS5_IJSQ_SO_SO_SQ_SG_EEENS5_IJST_SU_SV_SX_SW_EEENS5_IJNSS_IJLi1ELi2EEEESW_SX_NSS_IJLi5ELi6EEEES18_EEENSS_IJLi5ELi7ELi6EEEElEENSB_INS5_IJSK_SO_SO_EEENS5_IJST_SU_SV_EEENS5_IJS1I_SW_SX_EEENSS_IJLi3ELi4EEEElEELi128ELi128ELi16ELi4ELi4ELi4ELi1ENSS_IJLi8ELi2EEEES1S_NSS_IJLi8ELi1ELi1ELi4EEEENSS_IJLi2ELi1ELi128ELi1EEEENSS_IJLi1ELi2ELi0ELi3EEEES1V_NSS_IJLi4ELi1ELi1ELi4EEEES1V_NSS_IJLi1ELi1ELi1ELi4EEEES1T_S1U_S1V_S1V_S1W_S1V_S1X_NSS_IJLi0ELi1ELi2ELi3ELi4ELi5EEEELi5ELi4EEEaNS5_IJPKaEEEaS8_S8_S9_NSB_INS5_IJSE_SG_SI_SG_SG_SK_SG_SM_SM_SO_SO_SQ_SG_SG_NSP_INS5_IJiNS_17integral_constantIiLi128EEEEEELb0EEENSF_INS23_IiLi4EEEEEEEENS5_IJST_SU_SV_SW_SX_SY_SZ_S10_S11_S12_S13_S14_S15_NSS_IJLi15EEEES1C_NSS_IJLi16EEEEEEENS5_IJS17_SX_SY_SZ_S18_S19_S1A_S12_S13_S15_S14_S1B_S1C_NSS_IJLi18EEEENSS_IJLi19ELi20EEEENSS_IJLi21EEEEEEENSS_IJLi18ELi19ELi20ELi21EEEElEENSB_INS5_IJSQ_SO_SO_SQ_SG_SG_S26_S28_EEENS5_IJST_SU_SV_SX_SW_SY_S18_SZ_EEENS5_IJS1I_SW_SX_S1J_S18_NSS_IJLi8EEEENSS_IJLi9ELi10EEEES12_EEENSS_IJLi8ELi9ELi10ELi11EEEElEENS5_IJNSB_INS5_IJSK_SO_SO_NSP_INS5_IJiNS23_IiLi2EEENS23_IiLi64EEEEEELb0EEES2T_EEENS5_IJST_SU_SV_SW_SX_EEENS5_IJS1I_SW_SX_NSS_IJLi5ELi6ELi7EEEENSS_IJLi8ELi9ELi10EEEEEEENSS_IJLi5ELi6ELi7ELi8ELi9ELi10EEEElEEEEES30_NS_31BlockToCTileMap_M00_N00_M01_N01ILi128ELi128ES1R_Lb0EEENS1_30ComputePtrOffsetOfStridedBatchILi1ELi1ELi1EvEELb1ELb1EEEvPKT0_S38_T1_PT2_T3_T4_T5_iT6_T7_T8_T9_T10_T11_.num_named_barrier, 0
	.set _ZN2ck16tensor_operation6device12_GLOBAL__N_137kernel_grouped_conv_fwd_dl_multiple_dINS_32GridwiseGemmDlMultipleD_km_kn_mnILi256EaiNS_5TupleIJaEEEaNS0_12element_wise11PassThroughES8_NS7_7AddReluELNS_25InMemoryDataOperationEnumE0ENS_16TensorDescriptorINS5_IJNS_5EmbedINS5_IJiiiEEESD_Lb0EEENS_11PassThroughIiEENS_3PadIiiiLb0EEESG_SG_NSC_INS5_IJiiEEESJ_Lb0EEESG_NS_23Merge_v2_magic_divisionISJ_EESM_NS_8RightPadIiiLb0EEESO_NS_7UnMergeISJ_Lb0EEESG_EEENS5_IJNS_8SequenceIJLi0EEEENSS_IJLi1EEEENSS_IJLi2EEEENSS_IJLi3EEEENSS_IJLi4EEEENSS_IJLi5EEEENSS_IJLi6EEEENSS_IJLi7ELi9EEEENSS_IJLi8ELi10EEEENSS_IJLi11EEEENSS_IJLi12EEEENSS_IJLi14EEEENSS_IJLi13EEEEEEENS5_IJNSS_IJLi1ELi2ELi3EEEESX_SY_SZ_NSS_IJLi7EEEENSS_IJLi8ELi9EEEENSS_IJLi10EEEES12_S13_S15_S14_NSS_IJLi15ELi16EEEENSS_IJLi17EEEEEEENSS_IJLi15ELi17ELi16EEEElEENSB_INS5_IJSQ_SO_SO_SQ_SG_EEENS5_IJST_SU_SV_SX_SW_EEENS5_IJNSS_IJLi1ELi2EEEESW_SX_NSS_IJLi5ELi6EEEES18_EEENSS_IJLi5ELi7ELi6EEEElEENSB_INS5_IJSK_SO_SO_EEENS5_IJST_SU_SV_EEENS5_IJS1I_SW_SX_EEENSS_IJLi3ELi4EEEElEELi128ELi128ELi16ELi4ELi4ELi4ELi1ENSS_IJLi8ELi2EEEES1S_NSS_IJLi8ELi1ELi1ELi4EEEENSS_IJLi2ELi1ELi128ELi1EEEENSS_IJLi1ELi2ELi0ELi3EEEES1V_NSS_IJLi4ELi1ELi1ELi4EEEES1V_NSS_IJLi1ELi1ELi1ELi4EEEES1T_S1U_S1V_S1V_S1W_S1V_S1X_NSS_IJLi0ELi1ELi2ELi3ELi4ELi5EEEELi5ELi4EEEaNS5_IJPKaEEEaS8_S8_S9_NSB_INS5_IJSE_SG_SI_SG_SG_SK_SG_SM_SM_SO_SO_SQ_SG_SG_NSP_INS5_IJiNS_17integral_constantIiLi128EEEEEELb0EEENSF_INS23_IiLi4EEEEEEEENS5_IJST_SU_SV_SW_SX_SY_SZ_S10_S11_S12_S13_S14_S15_NSS_IJLi15EEEES1C_NSS_IJLi16EEEEEEENS5_IJS17_SX_SY_SZ_S18_S19_S1A_S12_S13_S15_S14_S1B_S1C_NSS_IJLi18EEEENSS_IJLi19ELi20EEEENSS_IJLi21EEEEEEENSS_IJLi18ELi19ELi20ELi21EEEElEENSB_INS5_IJSQ_SO_SO_SQ_SG_SG_S26_S28_EEENS5_IJST_SU_SV_SX_SW_SY_S18_SZ_EEENS5_IJS1I_SW_SX_S1J_S18_NSS_IJLi8EEEENSS_IJLi9ELi10EEEES12_EEENSS_IJLi8ELi9ELi10ELi11EEEElEENS5_IJNSB_INS5_IJSK_SO_SO_NSP_INS5_IJiNS23_IiLi2EEENS23_IiLi64EEEEEELb0EEES2T_EEENS5_IJST_SU_SV_SW_SX_EEENS5_IJS1I_SW_SX_NSS_IJLi5ELi6ELi7EEEENSS_IJLi8ELi9ELi10EEEEEEENSS_IJLi5ELi6ELi7ELi8ELi9ELi10EEEElEEEEES30_NS_31BlockToCTileMap_M00_N00_M01_N01ILi128ELi128ES1R_Lb0EEENS1_30ComputePtrOffsetOfStridedBatchILi1ELi1ELi1EvEELb1ELb1EEEvPKT0_S38_T1_PT2_T3_T4_T5_iT6_T7_T8_T9_T10_T11_.private_seg_size, 0
	.set _ZN2ck16tensor_operation6device12_GLOBAL__N_137kernel_grouped_conv_fwd_dl_multiple_dINS_32GridwiseGemmDlMultipleD_km_kn_mnILi256EaiNS_5TupleIJaEEEaNS0_12element_wise11PassThroughES8_NS7_7AddReluELNS_25InMemoryDataOperationEnumE0ENS_16TensorDescriptorINS5_IJNS_5EmbedINS5_IJiiiEEESD_Lb0EEENS_11PassThroughIiEENS_3PadIiiiLb0EEESG_SG_NSC_INS5_IJiiEEESJ_Lb0EEESG_NS_23Merge_v2_magic_divisionISJ_EESM_NS_8RightPadIiiLb0EEESO_NS_7UnMergeISJ_Lb0EEESG_EEENS5_IJNS_8SequenceIJLi0EEEENSS_IJLi1EEEENSS_IJLi2EEEENSS_IJLi3EEEENSS_IJLi4EEEENSS_IJLi5EEEENSS_IJLi6EEEENSS_IJLi7ELi9EEEENSS_IJLi8ELi10EEEENSS_IJLi11EEEENSS_IJLi12EEEENSS_IJLi14EEEENSS_IJLi13EEEEEEENS5_IJNSS_IJLi1ELi2ELi3EEEESX_SY_SZ_NSS_IJLi7EEEENSS_IJLi8ELi9EEEENSS_IJLi10EEEES12_S13_S15_S14_NSS_IJLi15ELi16EEEENSS_IJLi17EEEEEEENSS_IJLi15ELi17ELi16EEEElEENSB_INS5_IJSQ_SO_SO_SQ_SG_EEENS5_IJST_SU_SV_SX_SW_EEENS5_IJNSS_IJLi1ELi2EEEESW_SX_NSS_IJLi5ELi6EEEES18_EEENSS_IJLi5ELi7ELi6EEEElEENSB_INS5_IJSK_SO_SO_EEENS5_IJST_SU_SV_EEENS5_IJS1I_SW_SX_EEENSS_IJLi3ELi4EEEElEELi128ELi128ELi16ELi4ELi4ELi4ELi1ENSS_IJLi8ELi2EEEES1S_NSS_IJLi8ELi1ELi1ELi4EEEENSS_IJLi2ELi1ELi128ELi1EEEENSS_IJLi1ELi2ELi0ELi3EEEES1V_NSS_IJLi4ELi1ELi1ELi4EEEES1V_NSS_IJLi1ELi1ELi1ELi4EEEES1T_S1U_S1V_S1V_S1W_S1V_S1X_NSS_IJLi0ELi1ELi2ELi3ELi4ELi5EEEELi5ELi4EEEaNS5_IJPKaEEEaS8_S8_S9_NSB_INS5_IJSE_SG_SI_SG_SG_SK_SG_SM_SM_SO_SO_SQ_SG_SG_NSP_INS5_IJiNS_17integral_constantIiLi128EEEEEELb0EEENSF_INS23_IiLi4EEEEEEEENS5_IJST_SU_SV_SW_SX_SY_SZ_S10_S11_S12_S13_S14_S15_NSS_IJLi15EEEES1C_NSS_IJLi16EEEEEEENS5_IJS17_SX_SY_SZ_S18_S19_S1A_S12_S13_S15_S14_S1B_S1C_NSS_IJLi18EEEENSS_IJLi19ELi20EEEENSS_IJLi21EEEEEEENSS_IJLi18ELi19ELi20ELi21EEEElEENSB_INS5_IJSQ_SO_SO_SQ_SG_SG_S26_S28_EEENS5_IJST_SU_SV_SX_SW_SY_S18_SZ_EEENS5_IJS1I_SW_SX_S1J_S18_NSS_IJLi8EEEENSS_IJLi9ELi10EEEES12_EEENSS_IJLi8ELi9ELi10ELi11EEEElEENS5_IJNSB_INS5_IJSK_SO_SO_NSP_INS5_IJiNS23_IiLi2EEENS23_IiLi64EEEEEELb0EEES2T_EEENS5_IJST_SU_SV_SW_SX_EEENS5_IJS1I_SW_SX_NSS_IJLi5ELi6ELi7EEEENSS_IJLi8ELi9ELi10EEEEEEENSS_IJLi5ELi6ELi7ELi8ELi9ELi10EEEElEEEEES30_NS_31BlockToCTileMap_M00_N00_M01_N01ILi128ELi128ES1R_Lb0EEENS1_30ComputePtrOffsetOfStridedBatchILi1ELi1ELi1EvEELb1ELb1EEEvPKT0_S38_T1_PT2_T3_T4_T5_iT6_T7_T8_T9_T10_T11_.uses_vcc, 1
	.set _ZN2ck16tensor_operation6device12_GLOBAL__N_137kernel_grouped_conv_fwd_dl_multiple_dINS_32GridwiseGemmDlMultipleD_km_kn_mnILi256EaiNS_5TupleIJaEEEaNS0_12element_wise11PassThroughES8_NS7_7AddReluELNS_25InMemoryDataOperationEnumE0ENS_16TensorDescriptorINS5_IJNS_5EmbedINS5_IJiiiEEESD_Lb0EEENS_11PassThroughIiEENS_3PadIiiiLb0EEESG_SG_NSC_INS5_IJiiEEESJ_Lb0EEESG_NS_23Merge_v2_magic_divisionISJ_EESM_NS_8RightPadIiiLb0EEESO_NS_7UnMergeISJ_Lb0EEESG_EEENS5_IJNS_8SequenceIJLi0EEEENSS_IJLi1EEEENSS_IJLi2EEEENSS_IJLi3EEEENSS_IJLi4EEEENSS_IJLi5EEEENSS_IJLi6EEEENSS_IJLi7ELi9EEEENSS_IJLi8ELi10EEEENSS_IJLi11EEEENSS_IJLi12EEEENSS_IJLi14EEEENSS_IJLi13EEEEEEENS5_IJNSS_IJLi1ELi2ELi3EEEESX_SY_SZ_NSS_IJLi7EEEENSS_IJLi8ELi9EEEENSS_IJLi10EEEES12_S13_S15_S14_NSS_IJLi15ELi16EEEENSS_IJLi17EEEEEEENSS_IJLi15ELi17ELi16EEEElEENSB_INS5_IJSQ_SO_SO_SQ_SG_EEENS5_IJST_SU_SV_SX_SW_EEENS5_IJNSS_IJLi1ELi2EEEESW_SX_NSS_IJLi5ELi6EEEES18_EEENSS_IJLi5ELi7ELi6EEEElEENSB_INS5_IJSK_SO_SO_EEENS5_IJST_SU_SV_EEENS5_IJS1I_SW_SX_EEENSS_IJLi3ELi4EEEElEELi128ELi128ELi16ELi4ELi4ELi4ELi1ENSS_IJLi8ELi2EEEES1S_NSS_IJLi8ELi1ELi1ELi4EEEENSS_IJLi2ELi1ELi128ELi1EEEENSS_IJLi1ELi2ELi0ELi3EEEES1V_NSS_IJLi4ELi1ELi1ELi4EEEES1V_NSS_IJLi1ELi1ELi1ELi4EEEES1T_S1U_S1V_S1V_S1W_S1V_S1X_NSS_IJLi0ELi1ELi2ELi3ELi4ELi5EEEELi5ELi4EEEaNS5_IJPKaEEEaS8_S8_S9_NSB_INS5_IJSE_SG_SI_SG_SG_SK_SG_SM_SM_SO_SO_SQ_SG_SG_NSP_INS5_IJiNS_17integral_constantIiLi128EEEEEELb0EEENSF_INS23_IiLi4EEEEEEEENS5_IJST_SU_SV_SW_SX_SY_SZ_S10_S11_S12_S13_S14_S15_NSS_IJLi15EEEES1C_NSS_IJLi16EEEEEEENS5_IJS17_SX_SY_SZ_S18_S19_S1A_S12_S13_S15_S14_S1B_S1C_NSS_IJLi18EEEENSS_IJLi19ELi20EEEENSS_IJLi21EEEEEEENSS_IJLi18ELi19ELi20ELi21EEEElEENSB_INS5_IJSQ_SO_SO_SQ_SG_SG_S26_S28_EEENS5_IJST_SU_SV_SX_SW_SY_S18_SZ_EEENS5_IJS1I_SW_SX_S1J_S18_NSS_IJLi8EEEENSS_IJLi9ELi10EEEES12_EEENSS_IJLi8ELi9ELi10ELi11EEEElEENS5_IJNSB_INS5_IJSK_SO_SO_NSP_INS5_IJiNS23_IiLi2EEENS23_IiLi64EEEEEELb0EEES2T_EEENS5_IJST_SU_SV_SW_SX_EEENS5_IJS1I_SW_SX_NSS_IJLi5ELi6ELi7EEEENSS_IJLi8ELi9ELi10EEEEEEENSS_IJLi5ELi6ELi7ELi8ELi9ELi10EEEElEEEEES30_NS_31BlockToCTileMap_M00_N00_M01_N01ILi128ELi128ES1R_Lb0EEENS1_30ComputePtrOffsetOfStridedBatchILi1ELi1ELi1EvEELb1ELb1EEEvPKT0_S38_T1_PT2_T3_T4_T5_iT6_T7_T8_T9_T10_T11_.uses_flat_scratch, 0
	.set _ZN2ck16tensor_operation6device12_GLOBAL__N_137kernel_grouped_conv_fwd_dl_multiple_dINS_32GridwiseGemmDlMultipleD_km_kn_mnILi256EaiNS_5TupleIJaEEEaNS0_12element_wise11PassThroughES8_NS7_7AddReluELNS_25InMemoryDataOperationEnumE0ENS_16TensorDescriptorINS5_IJNS_5EmbedINS5_IJiiiEEESD_Lb0EEENS_11PassThroughIiEENS_3PadIiiiLb0EEESG_SG_NSC_INS5_IJiiEEESJ_Lb0EEESG_NS_23Merge_v2_magic_divisionISJ_EESM_NS_8RightPadIiiLb0EEESO_NS_7UnMergeISJ_Lb0EEESG_EEENS5_IJNS_8SequenceIJLi0EEEENSS_IJLi1EEEENSS_IJLi2EEEENSS_IJLi3EEEENSS_IJLi4EEEENSS_IJLi5EEEENSS_IJLi6EEEENSS_IJLi7ELi9EEEENSS_IJLi8ELi10EEEENSS_IJLi11EEEENSS_IJLi12EEEENSS_IJLi14EEEENSS_IJLi13EEEEEEENS5_IJNSS_IJLi1ELi2ELi3EEEESX_SY_SZ_NSS_IJLi7EEEENSS_IJLi8ELi9EEEENSS_IJLi10EEEES12_S13_S15_S14_NSS_IJLi15ELi16EEEENSS_IJLi17EEEEEEENSS_IJLi15ELi17ELi16EEEElEENSB_INS5_IJSQ_SO_SO_SQ_SG_EEENS5_IJST_SU_SV_SX_SW_EEENS5_IJNSS_IJLi1ELi2EEEESW_SX_NSS_IJLi5ELi6EEEES18_EEENSS_IJLi5ELi7ELi6EEEElEENSB_INS5_IJSK_SO_SO_EEENS5_IJST_SU_SV_EEENS5_IJS1I_SW_SX_EEENSS_IJLi3ELi4EEEElEELi128ELi128ELi16ELi4ELi4ELi4ELi1ENSS_IJLi8ELi2EEEES1S_NSS_IJLi8ELi1ELi1ELi4EEEENSS_IJLi2ELi1ELi128ELi1EEEENSS_IJLi1ELi2ELi0ELi3EEEES1V_NSS_IJLi4ELi1ELi1ELi4EEEES1V_NSS_IJLi1ELi1ELi1ELi4EEEES1T_S1U_S1V_S1V_S1W_S1V_S1X_NSS_IJLi0ELi1ELi2ELi3ELi4ELi5EEEELi5ELi4EEEaNS5_IJPKaEEEaS8_S8_S9_NSB_INS5_IJSE_SG_SI_SG_SG_SK_SG_SM_SM_SO_SO_SQ_SG_SG_NSP_INS5_IJiNS_17integral_constantIiLi128EEEEEELb0EEENSF_INS23_IiLi4EEEEEEEENS5_IJST_SU_SV_SW_SX_SY_SZ_S10_S11_S12_S13_S14_S15_NSS_IJLi15EEEES1C_NSS_IJLi16EEEEEEENS5_IJS17_SX_SY_SZ_S18_S19_S1A_S12_S13_S15_S14_S1B_S1C_NSS_IJLi18EEEENSS_IJLi19ELi20EEEENSS_IJLi21EEEEEEENSS_IJLi18ELi19ELi20ELi21EEEElEENSB_INS5_IJSQ_SO_SO_SQ_SG_SG_S26_S28_EEENS5_IJST_SU_SV_SX_SW_SY_S18_SZ_EEENS5_IJS1I_SW_SX_S1J_S18_NSS_IJLi8EEEENSS_IJLi9ELi10EEEES12_EEENSS_IJLi8ELi9ELi10ELi11EEEElEENS5_IJNSB_INS5_IJSK_SO_SO_NSP_INS5_IJiNS23_IiLi2EEENS23_IiLi64EEEEEELb0EEES2T_EEENS5_IJST_SU_SV_SW_SX_EEENS5_IJS1I_SW_SX_NSS_IJLi5ELi6ELi7EEEENSS_IJLi8ELi9ELi10EEEEEEENSS_IJLi5ELi6ELi7ELi8ELi9ELi10EEEElEEEEES30_NS_31BlockToCTileMap_M00_N00_M01_N01ILi128ELi128ES1R_Lb0EEENS1_30ComputePtrOffsetOfStridedBatchILi1ELi1ELi1EvEELb1ELb1EEEvPKT0_S38_T1_PT2_T3_T4_T5_iT6_T7_T8_T9_T10_T11_.has_dyn_sized_stack, 0
	.set _ZN2ck16tensor_operation6device12_GLOBAL__N_137kernel_grouped_conv_fwd_dl_multiple_dINS_32GridwiseGemmDlMultipleD_km_kn_mnILi256EaiNS_5TupleIJaEEEaNS0_12element_wise11PassThroughES8_NS7_7AddReluELNS_25InMemoryDataOperationEnumE0ENS_16TensorDescriptorINS5_IJNS_5EmbedINS5_IJiiiEEESD_Lb0EEENS_11PassThroughIiEENS_3PadIiiiLb0EEESG_SG_NSC_INS5_IJiiEEESJ_Lb0EEESG_NS_23Merge_v2_magic_divisionISJ_EESM_NS_8RightPadIiiLb0EEESO_NS_7UnMergeISJ_Lb0EEESG_EEENS5_IJNS_8SequenceIJLi0EEEENSS_IJLi1EEEENSS_IJLi2EEEENSS_IJLi3EEEENSS_IJLi4EEEENSS_IJLi5EEEENSS_IJLi6EEEENSS_IJLi7ELi9EEEENSS_IJLi8ELi10EEEENSS_IJLi11EEEENSS_IJLi12EEEENSS_IJLi14EEEENSS_IJLi13EEEEEEENS5_IJNSS_IJLi1ELi2ELi3EEEESX_SY_SZ_NSS_IJLi7EEEENSS_IJLi8ELi9EEEENSS_IJLi10EEEES12_S13_S15_S14_NSS_IJLi15ELi16EEEENSS_IJLi17EEEEEEENSS_IJLi15ELi17ELi16EEEElEENSB_INS5_IJSQ_SO_SO_SQ_SG_EEENS5_IJST_SU_SV_SX_SW_EEENS5_IJNSS_IJLi1ELi2EEEESW_SX_NSS_IJLi5ELi6EEEES18_EEENSS_IJLi5ELi7ELi6EEEElEENSB_INS5_IJSK_SO_SO_EEENS5_IJST_SU_SV_EEENS5_IJS1I_SW_SX_EEENSS_IJLi3ELi4EEEElEELi128ELi128ELi16ELi4ELi4ELi4ELi1ENSS_IJLi8ELi2EEEES1S_NSS_IJLi8ELi1ELi1ELi4EEEENSS_IJLi2ELi1ELi128ELi1EEEENSS_IJLi1ELi2ELi0ELi3EEEES1V_NSS_IJLi4ELi1ELi1ELi4EEEES1V_NSS_IJLi1ELi1ELi1ELi4EEEES1T_S1U_S1V_S1V_S1W_S1V_S1X_NSS_IJLi0ELi1ELi2ELi3ELi4ELi5EEEELi5ELi4EEEaNS5_IJPKaEEEaS8_S8_S9_NSB_INS5_IJSE_SG_SI_SG_SG_SK_SG_SM_SM_SO_SO_SQ_SG_SG_NSP_INS5_IJiNS_17integral_constantIiLi128EEEEEELb0EEENSF_INS23_IiLi4EEEEEEEENS5_IJST_SU_SV_SW_SX_SY_SZ_S10_S11_S12_S13_S14_S15_NSS_IJLi15EEEES1C_NSS_IJLi16EEEEEEENS5_IJS17_SX_SY_SZ_S18_S19_S1A_S12_S13_S15_S14_S1B_S1C_NSS_IJLi18EEEENSS_IJLi19ELi20EEEENSS_IJLi21EEEEEEENSS_IJLi18ELi19ELi20ELi21EEEElEENSB_INS5_IJSQ_SO_SO_SQ_SG_SG_S26_S28_EEENS5_IJST_SU_SV_SX_SW_SY_S18_SZ_EEENS5_IJS1I_SW_SX_S1J_S18_NSS_IJLi8EEEENSS_IJLi9ELi10EEEES12_EEENSS_IJLi8ELi9ELi10ELi11EEEElEENS5_IJNSB_INS5_IJSK_SO_SO_NSP_INS5_IJiNS23_IiLi2EEENS23_IiLi64EEEEEELb0EEES2T_EEENS5_IJST_SU_SV_SW_SX_EEENS5_IJS1I_SW_SX_NSS_IJLi5ELi6ELi7EEEENSS_IJLi8ELi9ELi10EEEEEEENSS_IJLi5ELi6ELi7ELi8ELi9ELi10EEEElEEEEES30_NS_31BlockToCTileMap_M00_N00_M01_N01ILi128ELi128ES1R_Lb0EEENS1_30ComputePtrOffsetOfStridedBatchILi1ELi1ELi1EvEELb1ELb1EEEvPKT0_S38_T1_PT2_T3_T4_T5_iT6_T7_T8_T9_T10_T11_.has_recursion, 0
	.set _ZN2ck16tensor_operation6device12_GLOBAL__N_137kernel_grouped_conv_fwd_dl_multiple_dINS_32GridwiseGemmDlMultipleD_km_kn_mnILi256EaiNS_5TupleIJaEEEaNS0_12element_wise11PassThroughES8_NS7_7AddReluELNS_25InMemoryDataOperationEnumE0ENS_16TensorDescriptorINS5_IJNS_5EmbedINS5_IJiiiEEESD_Lb0EEENS_11PassThroughIiEENS_3PadIiiiLb0EEESG_SG_NSC_INS5_IJiiEEESJ_Lb0EEESG_NS_23Merge_v2_magic_divisionISJ_EESM_NS_8RightPadIiiLb0EEESO_NS_7UnMergeISJ_Lb0EEESG_EEENS5_IJNS_8SequenceIJLi0EEEENSS_IJLi1EEEENSS_IJLi2EEEENSS_IJLi3EEEENSS_IJLi4EEEENSS_IJLi5EEEENSS_IJLi6EEEENSS_IJLi7ELi9EEEENSS_IJLi8ELi10EEEENSS_IJLi11EEEENSS_IJLi12EEEENSS_IJLi14EEEENSS_IJLi13EEEEEEENS5_IJNSS_IJLi1ELi2ELi3EEEESX_SY_SZ_NSS_IJLi7EEEENSS_IJLi8ELi9EEEENSS_IJLi10EEEES12_S13_S15_S14_NSS_IJLi15ELi16EEEENSS_IJLi17EEEEEEENSS_IJLi15ELi17ELi16EEEElEENSB_INS5_IJSQ_SO_SO_SQ_SG_EEENS5_IJST_SU_SV_SX_SW_EEENS5_IJNSS_IJLi1ELi2EEEESW_SX_NSS_IJLi5ELi6EEEES18_EEENSS_IJLi5ELi7ELi6EEEElEENSB_INS5_IJSK_SO_SO_EEENS5_IJST_SU_SV_EEENS5_IJS1I_SW_SX_EEENSS_IJLi3ELi4EEEElEELi128ELi128ELi16ELi4ELi4ELi4ELi1ENSS_IJLi8ELi2EEEES1S_NSS_IJLi8ELi1ELi1ELi4EEEENSS_IJLi2ELi1ELi128ELi1EEEENSS_IJLi1ELi2ELi0ELi3EEEES1V_NSS_IJLi4ELi1ELi1ELi4EEEES1V_NSS_IJLi1ELi1ELi1ELi4EEEES1T_S1U_S1V_S1V_S1W_S1V_S1X_NSS_IJLi0ELi1ELi2ELi3ELi4ELi5EEEELi5ELi4EEEaNS5_IJPKaEEEaS8_S8_S9_NSB_INS5_IJSE_SG_SI_SG_SG_SK_SG_SM_SM_SO_SO_SQ_SG_SG_NSP_INS5_IJiNS_17integral_constantIiLi128EEEEEELb0EEENSF_INS23_IiLi4EEEEEEEENS5_IJST_SU_SV_SW_SX_SY_SZ_S10_S11_S12_S13_S14_S15_NSS_IJLi15EEEES1C_NSS_IJLi16EEEEEEENS5_IJS17_SX_SY_SZ_S18_S19_S1A_S12_S13_S15_S14_S1B_S1C_NSS_IJLi18EEEENSS_IJLi19ELi20EEEENSS_IJLi21EEEEEEENSS_IJLi18ELi19ELi20ELi21EEEElEENSB_INS5_IJSQ_SO_SO_SQ_SG_SG_S26_S28_EEENS5_IJST_SU_SV_SX_SW_SY_S18_SZ_EEENS5_IJS1I_SW_SX_S1J_S18_NSS_IJLi8EEEENSS_IJLi9ELi10EEEES12_EEENSS_IJLi8ELi9ELi10ELi11EEEElEENS5_IJNSB_INS5_IJSK_SO_SO_NSP_INS5_IJiNS23_IiLi2EEENS23_IiLi64EEEEEELb0EEES2T_EEENS5_IJST_SU_SV_SW_SX_EEENS5_IJS1I_SW_SX_NSS_IJLi5ELi6ELi7EEEENSS_IJLi8ELi9ELi10EEEEEEENSS_IJLi5ELi6ELi7ELi8ELi9ELi10EEEElEEEEES30_NS_31BlockToCTileMap_M00_N00_M01_N01ILi128ELi128ES1R_Lb0EEENS1_30ComputePtrOffsetOfStridedBatchILi1ELi1ELi1EvEELb1ELb1EEEvPKT0_S38_T1_PT2_T3_T4_T5_iT6_T7_T8_T9_T10_T11_.has_indirect_call, 0
	.section	.AMDGPU.csdata,"",@progbits
; Kernel info:
; codeLenInByte = 43024
; TotalNumSgprs: 67
; NumVgprs: 202
; ScratchSize: 0
; MemoryBound: 0
; FloatMode: 240
; IeeeMode: 1
; LDSByteSize: 32768 bytes/workgroup (compile time only)
; SGPRBlocks: 0
; VGPRBlocks: 25
; NumSGPRsForWavesPerEU: 67
; NumVGPRsForWavesPerEU: 202
; Occupancy: 7
; WaveLimiterHint : 0
; COMPUTE_PGM_RSRC2:SCRATCH_EN: 0
; COMPUTE_PGM_RSRC2:USER_SGPR: 2
; COMPUTE_PGM_RSRC2:TRAP_HANDLER: 0
; COMPUTE_PGM_RSRC2:TGID_X_EN: 1
; COMPUTE_PGM_RSRC2:TGID_Y_EN: 0
; COMPUTE_PGM_RSRC2:TGID_Z_EN: 0
; COMPUTE_PGM_RSRC2:TIDIG_COMP_CNT: 0
	.section	.text._ZN2ck16tensor_operation6device12_GLOBAL__N_137kernel_grouped_conv_fwd_dl_multiple_dINS_32GridwiseGemmDlMultipleD_km_kn_mnILi256EaiNS_5TupleIJaEEEaNS0_12element_wise11PassThroughES8_NS7_7AddReluELNS_25InMemoryDataOperationEnumE0ENS_16TensorDescriptorINS5_IJNS_5EmbedINS5_IJiiiEEESD_Lb0EEENS_11PassThroughIiEENS_3PadIiiiLb0EEESG_SG_NSC_INS5_IJiiEEESJ_Lb0EEESG_NS_23Merge_v2_magic_divisionISJ_EESM_NS_8RightPadIiiLb0EEESO_NS_7UnMergeISJ_Lb0EEESG_EEENS5_IJNS_8SequenceIJLi0EEEENSS_IJLi1EEEENSS_IJLi2EEEENSS_IJLi3EEEENSS_IJLi4EEEENSS_IJLi5EEEENSS_IJLi6EEEENSS_IJLi7ELi9EEEENSS_IJLi8ELi10EEEENSS_IJLi11EEEENSS_IJLi12EEEENSS_IJLi14EEEENSS_IJLi13EEEEEEENS5_IJNSS_IJLi1ELi2ELi3EEEESX_SY_SZ_NSS_IJLi7EEEENSS_IJLi8ELi9EEEENSS_IJLi10EEEES12_S13_S15_S14_NSS_IJLi15ELi16EEEENSS_IJLi17EEEEEEENSS_IJLi15ELi17ELi16EEEElEENSB_INS5_IJSQ_SO_SO_SQ_SG_EEENS5_IJST_SU_SV_SX_SW_EEENS5_IJNSS_IJLi1ELi2EEEESW_SX_NSS_IJLi5ELi6EEEES18_EEENSS_IJLi5ELi7ELi6EEEElEENSB_INS5_IJSK_SO_SO_EEENS5_IJST_SU_SV_EEENS5_IJS1I_SW_SX_EEENSS_IJLi3ELi4EEEElEELi128ELi128ELi16ELi4ELi4ELi4ELi1ENSS_IJLi8ELi2EEEES1S_NSS_IJLi8ELi1ELi1ELi4EEEENSS_IJLi2ELi1ELi128ELi1EEEENSS_IJLi1ELi2ELi0ELi3EEEES1V_NSS_IJLi4ELi1ELi1ELi4EEEES1V_NSS_IJLi1ELi1ELi1ELi4EEEES1T_S1U_S1V_S1V_S1W_S1V_S1X_NSS_IJLi0ELi1ELi2ELi3ELi4ELi5EEEELi5ELi4EEEaNS5_IJPKaEEEaS8_S8_S9_NSB_INS5_IJSE_SG_SI_SG_SG_SK_SG_SM_SM_SO_SO_SQ_SG_SG_NSP_INS5_IJiNS_17integral_constantIiLi128EEEEEELb0EEENSF_INS23_IiLi4EEEEEEEENS5_IJST_SU_SV_SW_SX_SY_SZ_S10_S11_S12_S13_S14_S15_NSS_IJLi15EEEES1C_NSS_IJLi16EEEEEEENS5_IJS17_SX_SY_SZ_S18_S19_S1A_S12_S13_S15_S14_S1B_S1C_NSS_IJLi18EEEENSS_IJLi19ELi20EEEENSS_IJLi21EEEEEEENSS_IJLi18ELi19ELi20ELi21EEEElEENSB_INS5_IJSQ_SO_SO_SQ_SG_SG_S26_S28_EEENS5_IJST_SU_SV_SX_SW_SY_S18_SZ_EEENS5_IJS1I_SW_SX_S1J_S18_NSS_IJLi8EEEENSS_IJLi9ELi10EEEES12_EEENSS_IJLi8ELi9ELi10ELi11EEEElEENS5_IJNSB_INS5_IJSK_SO_SO_NSP_INS5_IJiNS23_IiLi2EEENS23_IiLi64EEEEEELb0EEES2T_EEENS5_IJST_SU_SV_SW_SX_EEENS5_IJS1I_SW_SX_NSS_IJLi5ELi6ELi7EEEENSS_IJLi8ELi9ELi10EEEEEEENSS_IJLi5ELi6ELi7ELi8ELi9ELi10EEEElEEEEES30_NS_31BlockToCTileMap_M00_N00_M01_N01ILi128ELi128ES1R_Lb0EEENS1_30ComputePtrOffsetOfStridedBatchILi1ELi1ELi1EvEELb1ELb0EEEvPKT0_S38_T1_PT2_T3_T4_T5_iT6_T7_T8_T9_T10_T11_,"axG",@progbits,_ZN2ck16tensor_operation6device12_GLOBAL__N_137kernel_grouped_conv_fwd_dl_multiple_dINS_32GridwiseGemmDlMultipleD_km_kn_mnILi256EaiNS_5TupleIJaEEEaNS0_12element_wise11PassThroughES8_NS7_7AddReluELNS_25InMemoryDataOperationEnumE0ENS_16TensorDescriptorINS5_IJNS_5EmbedINS5_IJiiiEEESD_Lb0EEENS_11PassThroughIiEENS_3PadIiiiLb0EEESG_SG_NSC_INS5_IJiiEEESJ_Lb0EEESG_NS_23Merge_v2_magic_divisionISJ_EESM_NS_8RightPadIiiLb0EEESO_NS_7UnMergeISJ_Lb0EEESG_EEENS5_IJNS_8SequenceIJLi0EEEENSS_IJLi1EEEENSS_IJLi2EEEENSS_IJLi3EEEENSS_IJLi4EEEENSS_IJLi5EEEENSS_IJLi6EEEENSS_IJLi7ELi9EEEENSS_IJLi8ELi10EEEENSS_IJLi11EEEENSS_IJLi12EEEENSS_IJLi14EEEENSS_IJLi13EEEEEEENS5_IJNSS_IJLi1ELi2ELi3EEEESX_SY_SZ_NSS_IJLi7EEEENSS_IJLi8ELi9EEEENSS_IJLi10EEEES12_S13_S15_S14_NSS_IJLi15ELi16EEEENSS_IJLi17EEEEEEENSS_IJLi15ELi17ELi16EEEElEENSB_INS5_IJSQ_SO_SO_SQ_SG_EEENS5_IJST_SU_SV_SX_SW_EEENS5_IJNSS_IJLi1ELi2EEEESW_SX_NSS_IJLi5ELi6EEEES18_EEENSS_IJLi5ELi7ELi6EEEElEENSB_INS5_IJSK_SO_SO_EEENS5_IJST_SU_SV_EEENS5_IJS1I_SW_SX_EEENSS_IJLi3ELi4EEEElEELi128ELi128ELi16ELi4ELi4ELi4ELi1ENSS_IJLi8ELi2EEEES1S_NSS_IJLi8ELi1ELi1ELi4EEEENSS_IJLi2ELi1ELi128ELi1EEEENSS_IJLi1ELi2ELi0ELi3EEEES1V_NSS_IJLi4ELi1ELi1ELi4EEEES1V_NSS_IJLi1ELi1ELi1ELi4EEEES1T_S1U_S1V_S1V_S1W_S1V_S1X_NSS_IJLi0ELi1ELi2ELi3ELi4ELi5EEEELi5ELi4EEEaNS5_IJPKaEEEaS8_S8_S9_NSB_INS5_IJSE_SG_SI_SG_SG_SK_SG_SM_SM_SO_SO_SQ_SG_SG_NSP_INS5_IJiNS_17integral_constantIiLi128EEEEEELb0EEENSF_INS23_IiLi4EEEEEEEENS5_IJST_SU_SV_SW_SX_SY_SZ_S10_S11_S12_S13_S14_S15_NSS_IJLi15EEEES1C_NSS_IJLi16EEEEEEENS5_IJS17_SX_SY_SZ_S18_S19_S1A_S12_S13_S15_S14_S1B_S1C_NSS_IJLi18EEEENSS_IJLi19ELi20EEEENSS_IJLi21EEEEEEENSS_IJLi18ELi19ELi20ELi21EEEElEENSB_INS5_IJSQ_SO_SO_SQ_SG_SG_S26_S28_EEENS5_IJST_SU_SV_SX_SW_SY_S18_SZ_EEENS5_IJS1I_SW_SX_S1J_S18_NSS_IJLi8EEEENSS_IJLi9ELi10EEEES12_EEENSS_IJLi8ELi9ELi10ELi11EEEElEENS5_IJNSB_INS5_IJSK_SO_SO_NSP_INS5_IJiNS23_IiLi2EEENS23_IiLi64EEEEEELb0EEES2T_EEENS5_IJST_SU_SV_SW_SX_EEENS5_IJS1I_SW_SX_NSS_IJLi5ELi6ELi7EEEENSS_IJLi8ELi9ELi10EEEEEEENSS_IJLi5ELi6ELi7ELi8ELi9ELi10EEEElEEEEES30_NS_31BlockToCTileMap_M00_N00_M01_N01ILi128ELi128ES1R_Lb0EEENS1_30ComputePtrOffsetOfStridedBatchILi1ELi1ELi1EvEELb1ELb0EEEvPKT0_S38_T1_PT2_T3_T4_T5_iT6_T7_T8_T9_T10_T11_,comdat
	.globl	_ZN2ck16tensor_operation6device12_GLOBAL__N_137kernel_grouped_conv_fwd_dl_multiple_dINS_32GridwiseGemmDlMultipleD_km_kn_mnILi256EaiNS_5TupleIJaEEEaNS0_12element_wise11PassThroughES8_NS7_7AddReluELNS_25InMemoryDataOperationEnumE0ENS_16TensorDescriptorINS5_IJNS_5EmbedINS5_IJiiiEEESD_Lb0EEENS_11PassThroughIiEENS_3PadIiiiLb0EEESG_SG_NSC_INS5_IJiiEEESJ_Lb0EEESG_NS_23Merge_v2_magic_divisionISJ_EESM_NS_8RightPadIiiLb0EEESO_NS_7UnMergeISJ_Lb0EEESG_EEENS5_IJNS_8SequenceIJLi0EEEENSS_IJLi1EEEENSS_IJLi2EEEENSS_IJLi3EEEENSS_IJLi4EEEENSS_IJLi5EEEENSS_IJLi6EEEENSS_IJLi7ELi9EEEENSS_IJLi8ELi10EEEENSS_IJLi11EEEENSS_IJLi12EEEENSS_IJLi14EEEENSS_IJLi13EEEEEEENS5_IJNSS_IJLi1ELi2ELi3EEEESX_SY_SZ_NSS_IJLi7EEEENSS_IJLi8ELi9EEEENSS_IJLi10EEEES12_S13_S15_S14_NSS_IJLi15ELi16EEEENSS_IJLi17EEEEEEENSS_IJLi15ELi17ELi16EEEElEENSB_INS5_IJSQ_SO_SO_SQ_SG_EEENS5_IJST_SU_SV_SX_SW_EEENS5_IJNSS_IJLi1ELi2EEEESW_SX_NSS_IJLi5ELi6EEEES18_EEENSS_IJLi5ELi7ELi6EEEElEENSB_INS5_IJSK_SO_SO_EEENS5_IJST_SU_SV_EEENS5_IJS1I_SW_SX_EEENSS_IJLi3ELi4EEEElEELi128ELi128ELi16ELi4ELi4ELi4ELi1ENSS_IJLi8ELi2EEEES1S_NSS_IJLi8ELi1ELi1ELi4EEEENSS_IJLi2ELi1ELi128ELi1EEEENSS_IJLi1ELi2ELi0ELi3EEEES1V_NSS_IJLi4ELi1ELi1ELi4EEEES1V_NSS_IJLi1ELi1ELi1ELi4EEEES1T_S1U_S1V_S1V_S1W_S1V_S1X_NSS_IJLi0ELi1ELi2ELi3ELi4ELi5EEEELi5ELi4EEEaNS5_IJPKaEEEaS8_S8_S9_NSB_INS5_IJSE_SG_SI_SG_SG_SK_SG_SM_SM_SO_SO_SQ_SG_SG_NSP_INS5_IJiNS_17integral_constantIiLi128EEEEEELb0EEENSF_INS23_IiLi4EEEEEEEENS5_IJST_SU_SV_SW_SX_SY_SZ_S10_S11_S12_S13_S14_S15_NSS_IJLi15EEEES1C_NSS_IJLi16EEEEEEENS5_IJS17_SX_SY_SZ_S18_S19_S1A_S12_S13_S15_S14_S1B_S1C_NSS_IJLi18EEEENSS_IJLi19ELi20EEEENSS_IJLi21EEEEEEENSS_IJLi18ELi19ELi20ELi21EEEElEENSB_INS5_IJSQ_SO_SO_SQ_SG_SG_S26_S28_EEENS5_IJST_SU_SV_SX_SW_SY_S18_SZ_EEENS5_IJS1I_SW_SX_S1J_S18_NSS_IJLi8EEEENSS_IJLi9ELi10EEEES12_EEENSS_IJLi8ELi9ELi10ELi11EEEElEENS5_IJNSB_INS5_IJSK_SO_SO_NSP_INS5_IJiNS23_IiLi2EEENS23_IiLi64EEEEEELb0EEES2T_EEENS5_IJST_SU_SV_SW_SX_EEENS5_IJS1I_SW_SX_NSS_IJLi5ELi6ELi7EEEENSS_IJLi8ELi9ELi10EEEEEEENSS_IJLi5ELi6ELi7ELi8ELi9ELi10EEEElEEEEES30_NS_31BlockToCTileMap_M00_N00_M01_N01ILi128ELi128ES1R_Lb0EEENS1_30ComputePtrOffsetOfStridedBatchILi1ELi1ELi1EvEELb1ELb0EEEvPKT0_S38_T1_PT2_T3_T4_T5_iT6_T7_T8_T9_T10_T11_ ; -- Begin function _ZN2ck16tensor_operation6device12_GLOBAL__N_137kernel_grouped_conv_fwd_dl_multiple_dINS_32GridwiseGemmDlMultipleD_km_kn_mnILi256EaiNS_5TupleIJaEEEaNS0_12element_wise11PassThroughES8_NS7_7AddReluELNS_25InMemoryDataOperationEnumE0ENS_16TensorDescriptorINS5_IJNS_5EmbedINS5_IJiiiEEESD_Lb0EEENS_11PassThroughIiEENS_3PadIiiiLb0EEESG_SG_NSC_INS5_IJiiEEESJ_Lb0EEESG_NS_23Merge_v2_magic_divisionISJ_EESM_NS_8RightPadIiiLb0EEESO_NS_7UnMergeISJ_Lb0EEESG_EEENS5_IJNS_8SequenceIJLi0EEEENSS_IJLi1EEEENSS_IJLi2EEEENSS_IJLi3EEEENSS_IJLi4EEEENSS_IJLi5EEEENSS_IJLi6EEEENSS_IJLi7ELi9EEEENSS_IJLi8ELi10EEEENSS_IJLi11EEEENSS_IJLi12EEEENSS_IJLi14EEEENSS_IJLi13EEEEEEENS5_IJNSS_IJLi1ELi2ELi3EEEESX_SY_SZ_NSS_IJLi7EEEENSS_IJLi8ELi9EEEENSS_IJLi10EEEES12_S13_S15_S14_NSS_IJLi15ELi16EEEENSS_IJLi17EEEEEEENSS_IJLi15ELi17ELi16EEEElEENSB_INS5_IJSQ_SO_SO_SQ_SG_EEENS5_IJST_SU_SV_SX_SW_EEENS5_IJNSS_IJLi1ELi2EEEESW_SX_NSS_IJLi5ELi6EEEES18_EEENSS_IJLi5ELi7ELi6EEEElEENSB_INS5_IJSK_SO_SO_EEENS5_IJST_SU_SV_EEENS5_IJS1I_SW_SX_EEENSS_IJLi3ELi4EEEElEELi128ELi128ELi16ELi4ELi4ELi4ELi1ENSS_IJLi8ELi2EEEES1S_NSS_IJLi8ELi1ELi1ELi4EEEENSS_IJLi2ELi1ELi128ELi1EEEENSS_IJLi1ELi2ELi0ELi3EEEES1V_NSS_IJLi4ELi1ELi1ELi4EEEES1V_NSS_IJLi1ELi1ELi1ELi4EEEES1T_S1U_S1V_S1V_S1W_S1V_S1X_NSS_IJLi0ELi1ELi2ELi3ELi4ELi5EEEELi5ELi4EEEaNS5_IJPKaEEEaS8_S8_S9_NSB_INS5_IJSE_SG_SI_SG_SG_SK_SG_SM_SM_SO_SO_SQ_SG_SG_NSP_INS5_IJiNS_17integral_constantIiLi128EEEEEELb0EEENSF_INS23_IiLi4EEEEEEEENS5_IJST_SU_SV_SW_SX_SY_SZ_S10_S11_S12_S13_S14_S15_NSS_IJLi15EEEES1C_NSS_IJLi16EEEEEEENS5_IJS17_SX_SY_SZ_S18_S19_S1A_S12_S13_S15_S14_S1B_S1C_NSS_IJLi18EEEENSS_IJLi19ELi20EEEENSS_IJLi21EEEEEEENSS_IJLi18ELi19ELi20ELi21EEEElEENSB_INS5_IJSQ_SO_SO_SQ_SG_SG_S26_S28_EEENS5_IJST_SU_SV_SX_SW_SY_S18_SZ_EEENS5_IJS1I_SW_SX_S1J_S18_NSS_IJLi8EEEENSS_IJLi9ELi10EEEES12_EEENSS_IJLi8ELi9ELi10ELi11EEEElEENS5_IJNSB_INS5_IJSK_SO_SO_NSP_INS5_IJiNS23_IiLi2EEENS23_IiLi64EEEEEELb0EEES2T_EEENS5_IJST_SU_SV_SW_SX_EEENS5_IJS1I_SW_SX_NSS_IJLi5ELi6ELi7EEEENSS_IJLi8ELi9ELi10EEEEEEENSS_IJLi5ELi6ELi7ELi8ELi9ELi10EEEElEEEEES30_NS_31BlockToCTileMap_M00_N00_M01_N01ILi128ELi128ES1R_Lb0EEENS1_30ComputePtrOffsetOfStridedBatchILi1ELi1ELi1EvEELb1ELb0EEEvPKT0_S38_T1_PT2_T3_T4_T5_iT6_T7_T8_T9_T10_T11_
	.p2align	8
	.type	_ZN2ck16tensor_operation6device12_GLOBAL__N_137kernel_grouped_conv_fwd_dl_multiple_dINS_32GridwiseGemmDlMultipleD_km_kn_mnILi256EaiNS_5TupleIJaEEEaNS0_12element_wise11PassThroughES8_NS7_7AddReluELNS_25InMemoryDataOperationEnumE0ENS_16TensorDescriptorINS5_IJNS_5EmbedINS5_IJiiiEEESD_Lb0EEENS_11PassThroughIiEENS_3PadIiiiLb0EEESG_SG_NSC_INS5_IJiiEEESJ_Lb0EEESG_NS_23Merge_v2_magic_divisionISJ_EESM_NS_8RightPadIiiLb0EEESO_NS_7UnMergeISJ_Lb0EEESG_EEENS5_IJNS_8SequenceIJLi0EEEENSS_IJLi1EEEENSS_IJLi2EEEENSS_IJLi3EEEENSS_IJLi4EEEENSS_IJLi5EEEENSS_IJLi6EEEENSS_IJLi7ELi9EEEENSS_IJLi8ELi10EEEENSS_IJLi11EEEENSS_IJLi12EEEENSS_IJLi14EEEENSS_IJLi13EEEEEEENS5_IJNSS_IJLi1ELi2ELi3EEEESX_SY_SZ_NSS_IJLi7EEEENSS_IJLi8ELi9EEEENSS_IJLi10EEEES12_S13_S15_S14_NSS_IJLi15ELi16EEEENSS_IJLi17EEEEEEENSS_IJLi15ELi17ELi16EEEElEENSB_INS5_IJSQ_SO_SO_SQ_SG_EEENS5_IJST_SU_SV_SX_SW_EEENS5_IJNSS_IJLi1ELi2EEEESW_SX_NSS_IJLi5ELi6EEEES18_EEENSS_IJLi5ELi7ELi6EEEElEENSB_INS5_IJSK_SO_SO_EEENS5_IJST_SU_SV_EEENS5_IJS1I_SW_SX_EEENSS_IJLi3ELi4EEEElEELi128ELi128ELi16ELi4ELi4ELi4ELi1ENSS_IJLi8ELi2EEEES1S_NSS_IJLi8ELi1ELi1ELi4EEEENSS_IJLi2ELi1ELi128ELi1EEEENSS_IJLi1ELi2ELi0ELi3EEEES1V_NSS_IJLi4ELi1ELi1ELi4EEEES1V_NSS_IJLi1ELi1ELi1ELi4EEEES1T_S1U_S1V_S1V_S1W_S1V_S1X_NSS_IJLi0ELi1ELi2ELi3ELi4ELi5EEEELi5ELi4EEEaNS5_IJPKaEEEaS8_S8_S9_NSB_INS5_IJSE_SG_SI_SG_SG_SK_SG_SM_SM_SO_SO_SQ_SG_SG_NSP_INS5_IJiNS_17integral_constantIiLi128EEEEEELb0EEENSF_INS23_IiLi4EEEEEEEENS5_IJST_SU_SV_SW_SX_SY_SZ_S10_S11_S12_S13_S14_S15_NSS_IJLi15EEEES1C_NSS_IJLi16EEEEEEENS5_IJS17_SX_SY_SZ_S18_S19_S1A_S12_S13_S15_S14_S1B_S1C_NSS_IJLi18EEEENSS_IJLi19ELi20EEEENSS_IJLi21EEEEEEENSS_IJLi18ELi19ELi20ELi21EEEElEENSB_INS5_IJSQ_SO_SO_SQ_SG_SG_S26_S28_EEENS5_IJST_SU_SV_SX_SW_SY_S18_SZ_EEENS5_IJS1I_SW_SX_S1J_S18_NSS_IJLi8EEEENSS_IJLi9ELi10EEEES12_EEENSS_IJLi8ELi9ELi10ELi11EEEElEENS5_IJNSB_INS5_IJSK_SO_SO_NSP_INS5_IJiNS23_IiLi2EEENS23_IiLi64EEEEEELb0EEES2T_EEENS5_IJST_SU_SV_SW_SX_EEENS5_IJS1I_SW_SX_NSS_IJLi5ELi6ELi7EEEENSS_IJLi8ELi9ELi10EEEEEEENSS_IJLi5ELi6ELi7ELi8ELi9ELi10EEEElEEEEES30_NS_31BlockToCTileMap_M00_N00_M01_N01ILi128ELi128ES1R_Lb0EEENS1_30ComputePtrOffsetOfStridedBatchILi1ELi1ELi1EvEELb1ELb0EEEvPKT0_S38_T1_PT2_T3_T4_T5_iT6_T7_T8_T9_T10_T11_,@function
_ZN2ck16tensor_operation6device12_GLOBAL__N_137kernel_grouped_conv_fwd_dl_multiple_dINS_32GridwiseGemmDlMultipleD_km_kn_mnILi256EaiNS_5TupleIJaEEEaNS0_12element_wise11PassThroughES8_NS7_7AddReluELNS_25InMemoryDataOperationEnumE0ENS_16TensorDescriptorINS5_IJNS_5EmbedINS5_IJiiiEEESD_Lb0EEENS_11PassThroughIiEENS_3PadIiiiLb0EEESG_SG_NSC_INS5_IJiiEEESJ_Lb0EEESG_NS_23Merge_v2_magic_divisionISJ_EESM_NS_8RightPadIiiLb0EEESO_NS_7UnMergeISJ_Lb0EEESG_EEENS5_IJNS_8SequenceIJLi0EEEENSS_IJLi1EEEENSS_IJLi2EEEENSS_IJLi3EEEENSS_IJLi4EEEENSS_IJLi5EEEENSS_IJLi6EEEENSS_IJLi7ELi9EEEENSS_IJLi8ELi10EEEENSS_IJLi11EEEENSS_IJLi12EEEENSS_IJLi14EEEENSS_IJLi13EEEEEEENS5_IJNSS_IJLi1ELi2ELi3EEEESX_SY_SZ_NSS_IJLi7EEEENSS_IJLi8ELi9EEEENSS_IJLi10EEEES12_S13_S15_S14_NSS_IJLi15ELi16EEEENSS_IJLi17EEEEEEENSS_IJLi15ELi17ELi16EEEElEENSB_INS5_IJSQ_SO_SO_SQ_SG_EEENS5_IJST_SU_SV_SX_SW_EEENS5_IJNSS_IJLi1ELi2EEEESW_SX_NSS_IJLi5ELi6EEEES18_EEENSS_IJLi5ELi7ELi6EEEElEENSB_INS5_IJSK_SO_SO_EEENS5_IJST_SU_SV_EEENS5_IJS1I_SW_SX_EEENSS_IJLi3ELi4EEEElEELi128ELi128ELi16ELi4ELi4ELi4ELi1ENSS_IJLi8ELi2EEEES1S_NSS_IJLi8ELi1ELi1ELi4EEEENSS_IJLi2ELi1ELi128ELi1EEEENSS_IJLi1ELi2ELi0ELi3EEEES1V_NSS_IJLi4ELi1ELi1ELi4EEEES1V_NSS_IJLi1ELi1ELi1ELi4EEEES1T_S1U_S1V_S1V_S1W_S1V_S1X_NSS_IJLi0ELi1ELi2ELi3ELi4ELi5EEEELi5ELi4EEEaNS5_IJPKaEEEaS8_S8_S9_NSB_INS5_IJSE_SG_SI_SG_SG_SK_SG_SM_SM_SO_SO_SQ_SG_SG_NSP_INS5_IJiNS_17integral_constantIiLi128EEEEEELb0EEENSF_INS23_IiLi4EEEEEEEENS5_IJST_SU_SV_SW_SX_SY_SZ_S10_S11_S12_S13_S14_S15_NSS_IJLi15EEEES1C_NSS_IJLi16EEEEEEENS5_IJS17_SX_SY_SZ_S18_S19_S1A_S12_S13_S15_S14_S1B_S1C_NSS_IJLi18EEEENSS_IJLi19ELi20EEEENSS_IJLi21EEEEEEENSS_IJLi18ELi19ELi20ELi21EEEElEENSB_INS5_IJSQ_SO_SO_SQ_SG_SG_S26_S28_EEENS5_IJST_SU_SV_SX_SW_SY_S18_SZ_EEENS5_IJS1I_SW_SX_S1J_S18_NSS_IJLi8EEEENSS_IJLi9ELi10EEEES12_EEENSS_IJLi8ELi9ELi10ELi11EEEElEENS5_IJNSB_INS5_IJSK_SO_SO_NSP_INS5_IJiNS23_IiLi2EEENS23_IiLi64EEEEEELb0EEES2T_EEENS5_IJST_SU_SV_SW_SX_EEENS5_IJS1I_SW_SX_NSS_IJLi5ELi6ELi7EEEENSS_IJLi8ELi9ELi10EEEEEEENSS_IJLi5ELi6ELi7ELi8ELi9ELi10EEEElEEEEES30_NS_31BlockToCTileMap_M00_N00_M01_N01ILi128ELi128ES1R_Lb0EEENS1_30ComputePtrOffsetOfStridedBatchILi1ELi1ELi1EvEELb1ELb0EEEvPKT0_S38_T1_PT2_T3_T4_T5_iT6_T7_T8_T9_T10_T11_: ; @_ZN2ck16tensor_operation6device12_GLOBAL__N_137kernel_grouped_conv_fwd_dl_multiple_dINS_32GridwiseGemmDlMultipleD_km_kn_mnILi256EaiNS_5TupleIJaEEEaNS0_12element_wise11PassThroughES8_NS7_7AddReluELNS_25InMemoryDataOperationEnumE0ENS_16TensorDescriptorINS5_IJNS_5EmbedINS5_IJiiiEEESD_Lb0EEENS_11PassThroughIiEENS_3PadIiiiLb0EEESG_SG_NSC_INS5_IJiiEEESJ_Lb0EEESG_NS_23Merge_v2_magic_divisionISJ_EESM_NS_8RightPadIiiLb0EEESO_NS_7UnMergeISJ_Lb0EEESG_EEENS5_IJNS_8SequenceIJLi0EEEENSS_IJLi1EEEENSS_IJLi2EEEENSS_IJLi3EEEENSS_IJLi4EEEENSS_IJLi5EEEENSS_IJLi6EEEENSS_IJLi7ELi9EEEENSS_IJLi8ELi10EEEENSS_IJLi11EEEENSS_IJLi12EEEENSS_IJLi14EEEENSS_IJLi13EEEEEEENS5_IJNSS_IJLi1ELi2ELi3EEEESX_SY_SZ_NSS_IJLi7EEEENSS_IJLi8ELi9EEEENSS_IJLi10EEEES12_S13_S15_S14_NSS_IJLi15ELi16EEEENSS_IJLi17EEEEEEENSS_IJLi15ELi17ELi16EEEElEENSB_INS5_IJSQ_SO_SO_SQ_SG_EEENS5_IJST_SU_SV_SX_SW_EEENS5_IJNSS_IJLi1ELi2EEEESW_SX_NSS_IJLi5ELi6EEEES18_EEENSS_IJLi5ELi7ELi6EEEElEENSB_INS5_IJSK_SO_SO_EEENS5_IJST_SU_SV_EEENS5_IJS1I_SW_SX_EEENSS_IJLi3ELi4EEEElEELi128ELi128ELi16ELi4ELi4ELi4ELi1ENSS_IJLi8ELi2EEEES1S_NSS_IJLi8ELi1ELi1ELi4EEEENSS_IJLi2ELi1ELi128ELi1EEEENSS_IJLi1ELi2ELi0ELi3EEEES1V_NSS_IJLi4ELi1ELi1ELi4EEEES1V_NSS_IJLi1ELi1ELi1ELi4EEEES1T_S1U_S1V_S1V_S1W_S1V_S1X_NSS_IJLi0ELi1ELi2ELi3ELi4ELi5EEEELi5ELi4EEEaNS5_IJPKaEEEaS8_S8_S9_NSB_INS5_IJSE_SG_SI_SG_SG_SK_SG_SM_SM_SO_SO_SQ_SG_SG_NSP_INS5_IJiNS_17integral_constantIiLi128EEEEEELb0EEENSF_INS23_IiLi4EEEEEEEENS5_IJST_SU_SV_SW_SX_SY_SZ_S10_S11_S12_S13_S14_S15_NSS_IJLi15EEEES1C_NSS_IJLi16EEEEEEENS5_IJS17_SX_SY_SZ_S18_S19_S1A_S12_S13_S15_S14_S1B_S1C_NSS_IJLi18EEEENSS_IJLi19ELi20EEEENSS_IJLi21EEEEEEENSS_IJLi18ELi19ELi20ELi21EEEElEENSB_INS5_IJSQ_SO_SO_SQ_SG_SG_S26_S28_EEENS5_IJST_SU_SV_SX_SW_SY_S18_SZ_EEENS5_IJS1I_SW_SX_S1J_S18_NSS_IJLi8EEEENSS_IJLi9ELi10EEEES12_EEENSS_IJLi8ELi9ELi10ELi11EEEElEENS5_IJNSB_INS5_IJSK_SO_SO_NSP_INS5_IJiNS23_IiLi2EEENS23_IiLi64EEEEEELb0EEES2T_EEENS5_IJST_SU_SV_SW_SX_EEENS5_IJS1I_SW_SX_NSS_IJLi5ELi6ELi7EEEENSS_IJLi8ELi9ELi10EEEEEEENSS_IJLi5ELi6ELi7ELi8ELi9ELi10EEEElEEEEES30_NS_31BlockToCTileMap_M00_N00_M01_N01ILi128ELi128ES1R_Lb0EEENS1_30ComputePtrOffsetOfStridedBatchILi1ELi1ELi1EvEELb1ELb0EEEvPKT0_S38_T1_PT2_T3_T4_T5_iT6_T7_T8_T9_T10_T11_
; %bb.0:
	s_clause 0x2
	s_load_b32 s2, s[0:1], 0x24
	s_load_b96 s[36:38], s[0:1], 0x34
	s_load_b128 s[12:15], s[0:1], 0x234
	v_lshrrev_b32_e32 v44, 1, v0
	s_mov_b32 s27, 0x31004000
	v_dual_mov_b32 v101, 0 :: v_dual_lshlrev_b32 v46, 1, v0
	v_lshrrev_b32_e32 v45, 5, v0
	v_mov_b32_e32 v103, 0
	v_mov_b32_e32 v77, 0
	v_dual_mov_b32 v17, 0 :: v_dual_mov_b32 v26, 0
	s_delay_alu instid0(VALU_DEP_4)
	v_lshlrev_b32_e32 v47, 6, v45
	v_and_b32_e32 v53, 0x1f8, v46
	v_lshlrev_b32_e32 v45, 3, v45
	v_dual_mov_b32 v19, 0 :: v_dual_mov_b32 v28, 0
	v_dual_mov_b32 v25, 0 :: v_dual_mov_b32 v30, 0
	;; [unrolled: 1-line block ×3, first 2 shown]
	s_wait_kmcnt 0x0
	s_abs_i32 s3, s2
	v_dual_mov_b32 v29, 0 :: v_dual_mov_b32 v42, 0
	s_cvt_f32_u32 s4, s3
	s_sub_co_i32 s6, 0, s3
	v_dual_mov_b32 v31, 0 :: v_dual_mov_b32 v68, 0
	s_delay_alu instid0(SALU_CYCLE_1)
	v_rcp_iflag_f32_e32 v1, s4
	s_load_b32 s4, s[0:1], 0x288
	v_dual_mov_b32 v21, 0 :: v_dual_mov_b32 v70, 0
	v_dual_mov_b32 v37, 0 :: v_dual_mov_b32 v72, 0
	;; [unrolled: 1-line block ×4, first 2 shown]
	s_delay_alu instid0(TRANS32_DEP_1)
	v_readfirstlane_b32 s5, v1
	v_dual_mov_b32 v43, 0 :: v_dual_mov_b32 v84, 0
	v_dual_mov_b32 v67, 0 :: v_dual_mov_b32 v74, 0
	s_mul_f32 s5, s5, 0x4f7ffffe
	v_dual_mov_b32 v71, 0 :: v_dual_mov_b32 v76, 0
	v_dual_mov_b32 v81, 0 :: v_dual_mov_b32 v88, 0
	s_wait_alu 0xfffe
	s_cvt_u32_f32 s5, s5
	s_wait_kmcnt 0x0
	s_abs_i32 s7, s4
	s_xor_b32 s2, s4, s2
	v_dual_mov_b32 v73, 0 :: v_dual_mov_b32 v90, 0
	s_wait_alu 0xfffe
	s_mul_i32 s6, s6, s5
	s_ashr_i32 s2, s2, 31
	s_mul_hi_u32 s6, s5, s6
	v_dual_mov_b32 v79, 0 :: v_dual_mov_b32 v92, 0
	s_add_co_i32 s5, s5, s6
	v_dual_mov_b32 v89, 0 :: v_dual_mov_b32 v86, 0
	s_wait_alu 0xfffe
	s_mul_hi_u32 s5, s7, s5
	v_dual_mov_b32 v83, 0 :: v_dual_mov_b32 v96, 0
	s_wait_alu 0xfffe
	s_mul_i32 s4, s5, s3
	s_add_co_i32 s6, s5, 1
	s_wait_alu 0xfffe
	s_sub_co_i32 s4, s7, s4
	v_dual_mov_b32 v85, 0 :: v_dual_mov_b32 v98, 0
	s_wait_alu 0xfffe
	s_sub_co_i32 s7, s4, s3
	s_cmp_ge_u32 s4, s3
	v_dual_mov_b32 v87, 0 :: v_dual_mov_b32 v94, 0
	s_cselect_b32 s5, s6, s5
	s_cselect_b32 s4, s7, s4
	s_wait_alu 0xfffe
	s_add_co_i32 s6, s5, 1
	s_cmp_ge_u32 s4, s3
	v_dual_mov_b32 v97, 0 :: v_dual_mov_b32 v100, 0
	s_cselect_b32 s3, s6, s5
	s_abs_i32 s10, ttmp9
	s_xor_b32 s3, s3, s2
	v_dual_mov_b32 v99, 0 :: v_dual_mov_b32 v102, 0
	s_sub_co_i32 s3, s3, s2
	v_dual_mov_b32 v91, 0 :: v_dual_mov_b32 v78, 0
	s_abs_i32 s8, s3
	s_xor_b32 s3, ttmp9, s3
	s_cvt_f32_u32 s2, s8
	s_sub_co_i32 s4, 0, s8
	s_ashr_i32 s3, s3, 31
	v_mov_b32_e32 v16, 0
	v_rcp_iflag_f32_e32 v1, s2
	v_dual_mov_b32 v93, 0 :: v_dual_mov_b32 v34, 0
	v_dual_mov_b32 v18, 0 :: v_dual_mov_b32 v95, 0
	v_mov_b32_e32 v32, 0
	s_load_b32 s30, s[0:1], 0x214
	v_dual_mov_b32 v23, 0 :: v_dual_mov_b32 v20, 0
	v_mov_b32_e32 v22, 0
	s_delay_alu instid0(TRANS32_DEP_1)
	v_readfirstlane_b32 s2, v1
	v_lshlrev_b32_e32 v1, 3, v0
	v_lshlrev_b32_e32 v0, 2, v0
	v_mov_b32_e32 v24, 0
	v_mov_b32_e32 v38, 0
	s_mul_f32 s2, s2, 0x4f7ffffe
	v_dual_mov_b32 v40, 0 :: v_dual_and_b32 v15, 8, v1
	s_wait_alu 0xfffe
	s_delay_alu instid0(SALU_CYCLE_1) | instskip(NEXT) | instid1(VALU_DEP_1)
	s_cvt_u32_f32 s2, s2
	v_or_b32_e32 v57, 32, v15
	v_or_b32_e32 v58, 20, v15
	s_wait_alu 0xfffe
	s_mul_i32 s9, s4, s2
	s_load_b128 s[4:7], s[0:1], 0x248
	s_mul_hi_u32 s9, s2, s9
	s_delay_alu instid0(SALU_CYCLE_1) | instskip(SKIP_4) | instid1(SALU_CYCLE_1)
	s_add_co_i32 s9, s2, s9
	s_clause 0x1
	s_load_b32 s52, s[0:1], 0x94
	s_load_b32 s2, s[0:1], 0xc4
	s_mul_hi_u32 s9, s10, s9
	s_mul_i32 s11, s9, s8
	s_delay_alu instid0(SALU_CYCLE_1)
	s_sub_co_i32 s10, s10, s11
	s_add_co_i32 s11, s9, 1
	s_sub_co_i32 s16, s10, s8
	s_cmp_ge_u32 s10, s8
	s_cselect_b32 s9, s11, s9
	s_cselect_b32 s10, s16, s10
	s_add_co_i32 s11, s9, 1
	s_cmp_ge_u32 s10, s8
	s_mul_hi_u32 s8, s15, ttmp9
	s_cselect_b32 s24, s11, s9
	s_add_co_i32 s8, ttmp9, s8
	s_xor_b32 s24, s24, s3
	s_wait_kmcnt 0x0
	s_lshr_b32 s25, s8, s7
	s_load_b128 s[8:11], s[0:1], 0x220
	s_mul_hi_u32 s7, s25, s14
	s_load_b32 s14, s[0:1], 0x204
	s_add_co_i32 s7, s25, s7
	v_mul_lo_u32 v35, s2, v15
	s_lshr_b32 s28, s7, s6
	s_clause 0x5
	s_load_b32 s6, s[0:1], 0x78
	s_load_b32 s29, s[0:1], 0x80
	;; [unrolled: 1-line block ×6, first 2 shown]
	s_mul_hi_u32 s7, s28, s13
	s_clause 0x1
	s_load_b128 s[20:23], s[0:1], 0x0
	s_load_b64 s[46:47], s[0:1], 0x18
	s_add_co_i32 s7, s28, s7
	s_lshl_b32 s59, s2, 2
	s_lshr_b32 s5, s7, s5
	v_mul_hi_u32 v1, v35, s52
	s_wait_alu 0xfffe
	s_mul_hi_u32 s7, s5, s12
	v_add_nc_u32_e32 v48, s59, v35
	s_add_co_i32 s7, s5, s7
	s_sub_co_i32 s50, s24, s3
	s_lshr_b32 s4, s7, s4
	s_ashr_i32 s51, s50, 31
	v_mul_hi_u32 v5, v48, s52
	s_wait_kmcnt 0x0
	s_wait_alu 0xfffe
	s_mul_i32 s4, s4, s8
	s_mul_i32 s7, s28, s10
	s_wait_alu 0xfffe
	s_sub_co_i32 s4, s5, s4
	s_sub_co_i32 s43, s25, s7
	s_load_b32 s8, s[0:1], 0x120
	s_mul_i32 s4, s4, s14
	v_add_nc_u32_e32 v1, v35, v1
	s_wait_alu 0xfffe
	s_add_co_i32 s43, s43, s4
	s_clause 0x3
	s_load_b64 s[48:49], s[0:1], 0x60
	s_load_b32 s56, s[0:1], 0x48
	s_load_b32 s4, s[0:1], 0x70
	s_load_b96 s[40:42], s[0:1], 0x44
	v_lshl_or_b32 v108, s43, 7, v44
	s_mul_i32 s5, s5, s9
	v_lshrrev_b32_e32 v2, s54, v1
	s_mul_i32 s25, s25, s11
	s_wait_alu 0xfffe
	s_sub_co_i32 s5, s28, s5
	v_mul_hi_u32 v3, v108, s6
	s_clause 0x6
	s_load_b32 s26, s[0:1], 0xe8
	s_load_b32 s31, s[0:1], 0xf8
	;; [unrolled: 1-line block ×5, first 2 shown]
	s_load_b64 s[44:45], s[0:1], 0x158
	s_load_b256 s[12:19], s[0:1], 0x260
	v_mul_lo_u32 v1, v2, s53
	s_wait_kmcnt 0x0
	s_sub_co_i32 s41, ttmp9, s25
	s_mul_i32 s5, s5, s30
	s_mov_b32 s7, s27
	s_wait_alu 0xfffe
	s_add_co_i32 s41, s41, s5
	v_cmp_gt_i32_e64 s3, s55, v35
	v_add_nc_u32_e32 v3, v108, v3
	v_lshl_or_b32 v109, s41, 7, v44
	v_sub_nc_u32_e32 v4, v35, v1
	v_mul_lo_u32 v1, v2, s48
	v_mul_lo_u32 v65, s8, v15
	v_lshrrev_b32_e32 v7, s29, v3
	v_add_nc_u32_e32 v3, v48, v5
	v_mul_lo_u32 v6, v4, s38
	v_mul_lo_u32 v50, v109, s31
	s_lshl_b32 s9, s8, 2
	v_mul_lo_u32 v5, v7, s4
	v_lshrrev_b32_e32 v49, s54, v3
	v_mul_lo_u32 v7, v7, s36
	s_mul_u64 s[4:5], s[14:15], s[50:51]
	s_mul_u64 s[12:13], s[12:13], s[50:51]
	s_wait_alu 0xfffe
	s_add_nc_u64 s[28:29], s[22:23], s[4:5]
	s_add_nc_u64 s[24:25], s[20:21], s[12:13]
	s_wait_alu 0xfffe
	s_and_b32 s29, s29, 0xffff
	v_sub_nc_u32_e32 v3, v108, v5
	v_mul_lo_u32 v5, v49, s53
	s_mov_b32 s4, s28
	s_wait_alu 0xfffe
	s_mov_b32 s5, s29
	s_and_b32 s25, s25, 0xffff
	v_mad_co_u64_u32 v[13:14], null, v3, s49, v[1:2]
	v_sub_nc_u32_e32 v1, v49, v2
	v_lshlrev_b32_e32 v44, 2, v44
	v_sub_nc_u32_e32 v51, v48, v5
	v_add_nc_u32_e32 v5, v50, v65
	v_cmp_gt_i32_e32 vcc_lo, s10, v109
	v_mul_lo_u32 v14, v1, s48
	v_subrev_nc_u32_e32 v8, s56, v13
	v_sub_nc_u32_e32 v9, v51, v4
	buffer_load_b128 v[1:4], v5, s[4:7], null offen
	v_add_nc_u32_e32 v5, s9, v5
	v_lshl_or_b32 v52, v15, 9, v44
	v_mul_lo_u32 v8, v8, s37
	v_mul_lo_u32 v9, v9, s38
	;; [unrolled: 1-line block ×3, first 2 shown]
	v_sub_nc_u32_e32 v44, v53, v47
	v_and_or_b32 v47, v46, 4, v45
	v_or_b32_e32 v45, 36, v15
	v_or_b32_e32 v15, 16, v15
	s_mov_b32 s30, s6
	v_add3_u32 v11, v7, v6, v8
	buffer_load_b128 v[5:8], v5, s[4:7], null offen
	v_mul_lo_u32 v56, s2, v45
	v_and_or_b32 v46, v0, 4, v44
	v_cmp_gt_i32_e64 s4, s57, v65
	v_add3_u32 v66, v9, v10, v11
	s_clause 0x1
	buffer_load_b128 v[9:12], v11, s[24:27], null offen
	buffer_load_b128 v[104:107], v66, s[24:27], null offen
	s_clause 0x3
	s_load_b32 s33, s[0:1], 0x1b4
	s_load_b32 s36, s[0:1], 0x1c0
	s_load_b64 s[14:15], s[0:1], 0x1e8
	s_load_b32 s5, s[0:1], 0xd0
	s_wait_kmcnt 0x0
	s_clause 0x3
	s_load_b32 s15, s[0:1], 0x164
	s_load_b32 s39, s[0:1], 0x170
	s_load_b64 s[22:23], s[0:1], 0x198
	s_load_b64 s[34:35], s[0:1], 0x1a8
	s_wait_kmcnt 0x0
	s_sub_co_i32 s23, s40, s42
	v_dual_mov_b32 v61, v56 :: v_dual_add_nc_u32 v0, s9, v65
	v_cmp_gt_i32_e64 s7, s23, v13
	v_add_nc_u32_e32 v65, v13, v14
	s_mul_i32 s6, s2, 12
	v_mul_lo_u32 v53, s8, v45
	v_mul_lo_u32 v54, s8, v57
	s_and_b32 s9, s7, s3
	v_cmp_gt_i32_e64 s7, s23, v65
	v_mul_lo_u32 v55, s8, v58
	v_mul_lo_u32 v57, s2, v57
	;; [unrolled: 1-line block ×5, first 2 shown]
	s_lshl_b32 s42, s8, 5
	s_wait_alu 0xfffe
	s_add_co_i32 s59, s59, s6
	v_cmp_gt_i32_e64 s6, s57, v0
	s_sub_co_i32 s40, s5, 32
	v_cmp_gt_i32_e64 s5, s55, v48
	v_cmp_le_i32_e64 s8, s56, v13
	v_cmp_le_i32_e64 s3, s56, v65
	s_and_b32 s4, s4, vcc_lo
	s_lshl_b32 s49, s2, 5
	v_cmp_gt_i32_e64 s2, s60, v108
	v_dual_mov_b32 v75, 0 :: v_dual_lshlrev_b32 v44, 2, v47
	v_dual_mov_b32 v69, 0 :: v_dual_mov_b32 v62, v57
	v_dual_mov_b32 v33, 0 :: v_dual_mov_b32 v64, v59
	v_lshlrev_b32_e32 v45, 2, v46
	v_mov_b32_e32 v63, v58
	s_mov_b32 s20, 0
	s_mov_b32 s21, 0
	;; [unrolled: 1-line block ×3, first 2 shown]
	s_sub_co_i32 s58, 0, s53
	s_wait_loadcnt 0x3
	s_wait_alu 0xfffe
	v_cndmask_b32_e64 v2, 0, v2, s4
	v_cndmask_b32_e64 v1, 0, v1, s4
	;; [unrolled: 1-line block ×4, first 2 shown]
	s_and_b32 s4, s7, s5
	s_and_b32 s5, s9, s8
	s_wait_alu 0xfffe
	s_and_b32 s4, s4, s3
	s_and_b32 s3, s6, vcc_lo
	ds_store_2addr_stride64_b32 v52, v1, v2 offset0:64 offset1:66
	ds_store_2addr_stride64_b32 v52, v3, v0 offset0:68 offset1:70
	s_wait_loadcnt 0x2
	s_wait_alu 0xfffe
	v_cndmask_b32_e64 v0, 0, v8, s3
	v_cndmask_b32_e64 v1, 0, v7, s3
	;; [unrolled: 1-line block ×4, first 2 shown]
	s_and_b32 s3, s2, s5
	s_wait_loadcnt 0x1
	s_wait_alu 0xfffe
	v_cndmask_b32_e64 v4, 0, v12, s3
	v_cndmask_b32_e64 v5, 0, v11, s3
	;; [unrolled: 1-line block ×4, first 2 shown]
	s_and_b32 s3, s2, s4
	s_wait_loadcnt 0x0
	s_wait_alu 0xfffe
	v_cndmask_b32_e64 v9, 0, v105, s3
	v_cndmask_b32_e64 v10, 0, v104, s3
	;; [unrolled: 1-line block ×4, first 2 shown]
	ds_store_2addr_stride64_b32 v52, v3, v2 offset0:72 offset1:74
	ds_store_2addr_stride64_b32 v52, v7, v6 offset1:2
	ds_store_2addr_stride64_b32 v52, v5, v4 offset0:4 offset1:6
	ds_store_2addr_stride64_b32 v52, v10, v9 offset0:8 offset1:10
	;; [unrolled: 1-line block ×4, first 2 shown]
.LBB2_1:                                ; =>This Inner Loop Header: Depth=1
	v_mul_hi_u32 v12, s52, v64
	v_add_nc_u32_e32 v11, s20, v59
	v_mul_hi_u32 v13, s52, v63
	v_mul_hi_u32 v14, s52, v62
	;; [unrolled: 1-line block ×3, first 2 shown]
	v_add_nc_u32_e32 v8, s20, v58
	v_add_nc_u32_e32 v9, s20, v57
	;; [unrolled: 1-line block ×4, first 2 shown]
	v_cmp_gt_i32_e64 s3, s57, v60
	v_add_nc_u32_e32 v13, v8, v13
	v_add_nc_u32_e32 v14, v9, v14
	;; [unrolled: 1-line block ×3, first 2 shown]
	v_lshrrev_b32_e32 v105, s54, v12
	v_cmp_gt_i32_e64 s4, s57, v55
	v_lshrrev_b32_e32 v106, s54, v13
	v_lshrrev_b32_e32 v14, s54, v14
	v_cmp_gt_i32_e64 s10, s55, v8
	v_mul_lo_u32 v107, s58, v105
	v_sub_nc_u32_e32 v108, v105, v49
	v_lshrrev_b32_e32 v49, s54, v15
	s_and_b32 s7, vcc_lo, s3
	s_and_b32 s3, vcc_lo, s4
	v_cmp_gt_i32_e64 s4, s55, v9
	v_mad_co_u64_u32 v[12:13], null, s58, v106, v[8:9]
	v_mad_co_u64_u32 v[8:9], null, s58, v14, v[9:10]
	v_cmp_gt_i32_e64 s9, s55, v10
	v_mad_co_u64_u32 v[9:10], null, s58, v49, v[10:11]
	v_sub_nc_u32_e32 v13, v106, v105
	v_sub_nc_u32_e32 v105, v14, v106
	;; [unrolled: 1-line block ×4, first 2 shown]
	v_mul_lo_u32 v15, v108, s48
	v_cmp_gt_i32_e64 s8, s55, v11
	v_add_nc_u32_e32 v51, v11, v107
	v_mul_lo_u32 v13, v13, s48
	v_add_nc_u32_e32 v11, v11, v14
	v_sub_nc_u32_e32 v106, v8, v12
	v_sub_nc_u32_e32 v8, v9, v8
	;; [unrolled: 1-line block ×3, first 2 shown]
	v_add_nc_u32_e32 v14, v15, v65
	v_mul_lo_u32 v15, v15, s37
	v_mul_lo_u32 v9, v11, s38
	;; [unrolled: 1-line block ×5, first 2 shown]
	v_cmp_gt_i32_e64 s12, s23, v14
	v_add_nc_u32_e32 v11, v13, v14
	v_mul_lo_u32 v105, v49, s53
	v_mul_lo_u32 v10, v10, s48
	v_add3_u32 v13, v15, v66, v9
	v_add_nc_u32_e32 v0, v50, v60
	v_add3_u32 v48, s59, s59, v48
	v_mul_lo_u32 v108, v106, s38
	v_cmp_le_i32_e64 s11, s56, v14
	v_mul_lo_u32 v106, v8, s38
	s_and_b32 s13, s12, s8
	v_cmp_gt_i32_e64 s8, s23, v11
	v_add_nc_u32_e32 v8, v109, v11
	v_add3_u32 v66, v13, v110, v12
	v_add_nc_u32_e32 v1, v50, v55
	s_clause 0x1
	buffer_load_b128 v[4:7], v0, s[28:31], null offen
	buffer_load_b128 v[0:3], v1, s[28:31], null offen
	v_mul_lo_u32 v107, v109, s37
	v_sub_nc_u32_e32 v51, v48, v105
	v_mul_lo_u32 v105, v10, s37
	v_cmp_le_i32_e64 s12, s56, v11
	s_and_b32 s13, s13, s11
	s_and_b32 s11, s8, s10
	v_cmp_le_i32_e64 s8, s56, v8
	v_cmp_gt_i32_e64 s10, s23, v8
	v_add_nc_u32_e32 v65, v10, v8
	s_clause 0x1
	buffer_load_b128 v[8:11], v13, s[24:27], null offen
	buffer_load_b128 v[12:15], v66, s[24:27], null offen
	s_wait_dscnt 0x0
	s_barrier_signal -1
	s_barrier_wait -1
	ds_load_b128 v[109:112], v44
	ds_load_b128 v[113:116], v45 offset:16384
	ds_load_b128 v[117:120], v45 offset:16640
	;; [unrolled: 1-line block ×19, first 2 shown]
	v_add_nc_u32_e32 v35, v50, v54
	v_add_nc_u32_e32 v104, v50, v53
	v_add3_u32 v66, v108, v107, v66
	s_wait_dscnt 0x10
	v_dot4_i32_iu8 v36, v121, v117, v36 neg_lo:[1,1,0]
	v_dot4_i32_iu8 v195, v122, v118, v22 neg_lo:[1,1,0]
	v_dot4_i32_iu8 v196, v122, v119, v21 neg_lo:[1,1,0]
	v_dot4_i32_iu8 v197, v123, v117, v19 neg_lo:[1,1,0]
	v_dot4_i32_iu8 v198, v123, v118, v18 neg_lo:[1,1,0]
	v_dot4_i32_iu8 v199, v123, v119, v17 neg_lo:[1,1,0]
	v_dot4_i32_iu8 v34, v124, v117, v34 neg_lo:[1,1,0]
	v_dot4_i32_iu8 v69, v124, v118, v69 neg_lo:[1,1,0]
	v_dot4_i32_iu8 v32, v124, v119, v32 neg_lo:[1,1,0]
	v_dot4_i32_iu8 v33, v124, v120, v33 neg_lo:[1,1,0]
	s_wait_dscnt 0xc
	v_dot4_i32_iu8 v36, v137, v129, v36 neg_lo:[1,1,0]
	v_dot4_i32_iu8 v34, v140, v129, v34 neg_lo:[1,1,0]
	;; [unrolled: 1-line block ×36, first 2 shown]
	ds_load_b128 v[70:73], v45 offset:18944
	v_dot4_i32_iu8 v67, v121, v113, v67 neg_lo:[1,1,0]
	v_dot4_i32_iu8 v43, v121, v114, v43 neg_lo:[1,1,0]
	;; [unrolled: 1-line block ×16, first 2 shown]
	ds_load_b128 v[37:40], v45 offset:19200
	v_dot4_i32_iu8 v114, v121, v118, v30 neg_lo:[1,1,0]
	v_dot4_i32_iu8 v115, v121, v119, v28 neg_lo:[1,1,0]
	;; [unrolled: 1-line block ×38, first 2 shown]
	ds_load_b128 v[16:19], v44 offset:2560
	ds_load_b128 v[20:23], v44 offset:2816
	;; [unrolled: 1-line block ×3, first 2 shown]
	v_dot4_i32_iu8 v67, v137, v125, v67 neg_lo:[1,1,0]
	v_dot4_i32_iu8 v43, v137, v126, v43 neg_lo:[1,1,0]
	;; [unrolled: 1-line block ×16, first 2 shown]
	ds_load_b128 v[28:31], v45 offset:19712
	v_dot4_i32_iu8 v114, v137, v130, v114 neg_lo:[1,1,0]
	v_dot4_i32_iu8 v115, v137, v131, v115 neg_lo:[1,1,0]
	;; [unrolled: 1-line block ×12, first 2 shown]
	s_wait_dscnt 0xf
	v_dot4_i32_iu8 v103, v149, v141, v103 neg_lo:[1,1,0]
	v_dot4_i32_iu8 v102, v149, v142, v102 neg_lo:[1,1,0]
	;; [unrolled: 1-line block ×32, first 2 shown]
	ds_load_b128 v[74:77], v44 offset:3072
	ds_load_b128 v[78:81], v44 offset:3328
	;; [unrolled: 1-line block ×4, first 2 shown]
	s_wait_dscnt 0x12
	v_dot4_i32_iu8 v67, v153, v141, v67 neg_lo:[1,1,0]
	v_dot4_i32_iu8 v43, v153, v142, v43 neg_lo:[1,1,0]
	;; [unrolled: 1-line block ×32, first 2 shown]
	s_wait_dscnt 0xf
	v_dot4_i32_iu8 v103, v165, v157, v103 neg_lo:[1,1,0]
	v_dot4_i32_iu8 v102, v165, v158, v102 neg_lo:[1,1,0]
	;; [unrolled: 1-line block ×32, first 2 shown]
	ds_load_b128 v[90:93], v44 offset:3584
	ds_load_b128 v[94:97], v44 offset:3840
	;; [unrolled: 1-line block ×3, first 2 shown]
	s_wait_dscnt 0x11
	v_dot4_i32_iu8 v67, v169, v157, v67 neg_lo:[1,1,0]
	v_dot4_i32_iu8 v43, v169, v158, v43 neg_lo:[1,1,0]
	;; [unrolled: 1-line block ×16, first 2 shown]
	ds_load_b128 v[109:112], v45 offset:20736
	v_dot4_i32_iu8 v36, v169, v161, v36 neg_lo:[1,1,0]
	v_dot4_i32_iu8 v158, v169, v162, v114 neg_lo:[1,1,0]
	;; [unrolled: 1-line block ×16, first 2 shown]
	s_wait_dscnt 0xf
	v_dot4_i32_iu8 v103, v181, v173, v103 neg_lo:[1,1,0]
	v_dot4_i32_iu8 v102, v181, v174, v102 neg_lo:[1,1,0]
	;; [unrolled: 1-line block ×32, first 2 shown]
	ds_load_b128 v[113:116], v44 offset:4096
	ds_load_b128 v[117:120], v44 offset:4352
	;; [unrolled: 1-line block ×3, first 2 shown]
	s_wait_dscnt 0x11
	v_dot4_i32_iu8 v67, v185, v173, v67 neg_lo:[1,1,0]
	v_dot4_i32_iu8 v43, v185, v174, v43 neg_lo:[1,1,0]
	;; [unrolled: 1-line block ×16, first 2 shown]
	ds_load_b128 v[125:128], v45 offset:21248
	v_dot4_i32_iu8 v36, v185, v177, v36 neg_lo:[1,1,0]
	v_dot4_i32_iu8 v158, v185, v178, v158 neg_lo:[1,1,0]
	;; [unrolled: 1-line block ×16, first 2 shown]
	s_wait_dscnt 0xf
	v_dot4_i32_iu8 v103, v16, v70, v103 neg_lo:[1,1,0]
	v_dot4_i32_iu8 v102, v16, v71, v102 neg_lo:[1,1,0]
	;; [unrolled: 1-line block ×32, first 2 shown]
	ds_load_b128 v[129:132], v44 offset:4608
	ds_load_b128 v[133:136], v44 offset:4864
	ds_load_b128 v[16:19], v45 offset:21504
	s_wait_dscnt 0x11
	v_dot4_i32_iu8 v187, v20, v70, v67 neg_lo:[1,1,0]
	v_dot4_i32_iu8 v188, v20, v71, v43 neg_lo:[1,1,0]
	;; [unrolled: 1-line block ×16, first 2 shown]
	ds_load_b128 v[67:70], v45 offset:21760
	v_dot4_i32_iu8 v173, v20, v37, v36 neg_lo:[1,1,0]
	v_dot4_i32_iu8 v158, v20, v38, v158 neg_lo:[1,1,0]
	;; [unrolled: 1-line block ×16, first 2 shown]
	s_wait_dscnt 0xf
	v_dot4_i32_iu8 v103, v74, v24, v103 neg_lo:[1,1,0]
	v_dot4_i32_iu8 v102, v74, v25, v102 neg_lo:[1,1,0]
	;; [unrolled: 1-line block ×32, first 2 shown]
	ds_load_b128 v[20:23], v44 offset:5120
	ds_load_b128 v[36:39], v44 offset:5376
	;; [unrolled: 1-line block ×3, first 2 shown]
	s_wait_dscnt 0x11
	v_dot4_i32_iu8 v181, v78, v24, v187 neg_lo:[1,1,0]
	v_dot4_i32_iu8 v182, v78, v25, v188 neg_lo:[1,1,0]
	;; [unrolled: 1-line block ×16, first 2 shown]
	ds_load_b128 v[24:27], v45 offset:22272
	v_dot4_i32_iu8 v173, v78, v28, v173 neg_lo:[1,1,0]
	v_dot4_i32_iu8 v158, v78, v29, v158 neg_lo:[1,1,0]
	;; [unrolled: 1-line block ×16, first 2 shown]
	s_wait_dscnt 0xf
	v_dot4_i32_iu8 v103, v90, v82, v103 neg_lo:[1,1,0]
	v_dot4_i32_iu8 v102, v90, v83, v102 neg_lo:[1,1,0]
	;; [unrolled: 1-line block ×32, first 2 shown]
	ds_load_b128 v[28:31], v44 offset:5632
	ds_load_b128 v[71:74], v44 offset:5888
	s_wait_dscnt 0x10
	v_dot4_i32_iu8 v181, v94, v82, v181 neg_lo:[1,1,0]
	v_dot4_i32_iu8 v182, v94, v83, v182 neg_lo:[1,1,0]
	v_dot4_i32_iu8 v183, v94, v84, v183 neg_lo:[1,1,0]
	v_dot4_i32_iu8 v185, v94, v85, v185 neg_lo:[1,1,0]
	v_dot4_i32_iu8 v168, v95, v82, v168 neg_lo:[1,1,0]
	v_dot4_i32_iu8 v184, v95, v83, v184 neg_lo:[1,1,0]
	v_dot4_i32_iu8 v186, v95, v84, v186 neg_lo:[1,1,0]
	v_dot4_i32_iu8 v187, v95, v85, v187 neg_lo:[1,1,0]
	v_dot4_i32_iu8 v151, v96, v82, v151 neg_lo:[1,1,0]
	v_dot4_i32_iu8 v152, v96, v83, v152 neg_lo:[1,1,0]
	v_dot4_i32_iu8 v188, v96, v84, v188 neg_lo:[1,1,0]
	v_dot4_i32_iu8 v189, v96, v85, v189 neg_lo:[1,1,0]
	v_dot4_i32_iu8 v157, v97, v82, v157 neg_lo:[1,1,0]
	v_dot4_i32_iu8 v190, v97, v83, v190 neg_lo:[1,1,0]
	v_dot4_i32_iu8 v191, v97, v84, v191 neg_lo:[1,1,0]
	v_dot4_i32_iu8 v192, v97, v85, v192 neg_lo:[1,1,0]
	v_dot4_i32_iu8 v173, v94, v86, v173 neg_lo:[1,1,0]
	v_dot4_i32_iu8 v158, v94, v87, v158 neg_lo:[1,1,0]
	v_dot4_i32_iu8 v159, v94, v88, v159 neg_lo:[1,1,0]
	v_dot4_i32_iu8 v160, v94, v89, v160 neg_lo:[1,1,0]
	v_dot4_i32_iu8 v169, v95, v86, v169 neg_lo:[1,1,0]
	v_dot4_i32_iu8 v174, v95, v87, v174 neg_lo:[1,1,0]
	v_dot4_i32_iu8 v137, v95, v88, v137 neg_lo:[1,1,0]
	v_dot4_i32_iu8 v170, v95, v89, v170 neg_lo:[1,1,0]
	v_dot4_i32_iu8 v138, v96, v86, v138 neg_lo:[1,1,0]
	v_dot4_i32_iu8 v141, v96, v87, v141 neg_lo:[1,1,0]
	v_dot4_i32_iu8 v142, v96, v88, v142 neg_lo:[1,1,0]
	v_dot4_i32_iu8 v171, v96, v89, v171 neg_lo:[1,1,0]
	v_dot4_i32_iu8 v34, v97, v86, v34 neg_lo:[1,1,0]
	v_dot4_i32_iu8 v175, v97, v87, v175 neg_lo:[1,1,0]
	v_dot4_i32_iu8 v32, v97, v88, v32 neg_lo:[1,1,0]
	v_dot4_i32_iu8 v33, v97, v89, v33 neg_lo:[1,1,0]
	s_wait_dscnt 0xd
	v_dot4_i32_iu8 v103, v113, v98, v103 neg_lo:[1,1,0]
	v_dot4_i32_iu8 v193, v113, v99, v102 neg_lo:[1,1,0]
	v_dot4_i32_iu8 v143, v113, v100, v143 neg_lo:[1,1,0]
	v_dot4_i32_iu8 v144, v113, v101, v144 neg_lo:[1,1,0]
	v_dot4_i32_iu8 v145, v114, v98, v145 neg_lo:[1,1,0]
	v_dot4_i32_iu8 v146, v114, v99, v146 neg_lo:[1,1,0]
	v_dot4_i32_iu8 v161, v114, v100, v161 neg_lo:[1,1,0]
	v_dot4_i32_iu8 v162, v114, v101, v162 neg_lo:[1,1,0]
	v_dot4_i32_iu8 v163, v115, v98, v163 neg_lo:[1,1,0]
	v_dot4_i32_iu8 v164, v115, v99, v164 neg_lo:[1,1,0]
	v_dot4_i32_iu8 v139, v115, v100, v139 neg_lo:[1,1,0]
	v_dot4_i32_iu8 v140, v115, v101, v140 neg_lo:[1,1,0]
	v_dot4_i32_iu8 v147, v116, v98, v147 neg_lo:[1,1,0]
	v_dot4_i32_iu8 v148, v116, v99, v148 neg_lo:[1,1,0]
	v_dot4_i32_iu8 v153, v116, v100, v153 neg_lo:[1,1,0]
	v_dot4_i32_iu8 v154, v116, v101, v154 neg_lo:[1,1,0]
	v_dot4_i32_iu8 v155, v113, v109, v155 neg_lo:[1,1,0]
	v_dot4_i32_iu8 v156, v113, v110, v156 neg_lo:[1,1,0]
	v_dot4_i32_iu8 v172, v113, v111, v172 neg_lo:[1,1,0]
	v_dot4_i32_iu8 v113, v113, v112, v149 neg_lo:[1,1,0]
	v_dot4_i32_iu8 v149, v114, v109, v165 neg_lo:[1,1,0]
	v_dot4_i32_iu8 v165, v114, v110, v176 neg_lo:[1,1,0]
	v_dot4_i32_iu8 v176, v114, v111, v177 neg_lo:[1,1,0]
	v_dot4_i32_iu8 v114, v114, v112, v91 neg_lo:[1,1,0]
	v_dot4_i32_iu8 v150, v115, v109, v150 neg_lo:[1,1,0]
	v_dot4_i32_iu8 v166, v115, v110, v166 neg_lo:[1,1,0]
	v_dot4_i32_iu8 v177, v115, v111, v178 neg_lo:[1,1,0]
	v_dot4_i32_iu8 v115, v115, v112, v92 neg_lo:[1,1,0]
	v_dot4_i32_iu8 v167, v116, v109, v167 neg_lo:[1,1,0]
	v_dot4_i32_iu8 v178, v116, v110, v179 neg_lo:[1,1,0]
	v_dot4_i32_iu8 v179, v116, v111, v180 neg_lo:[1,1,0]
	v_dot4_i32_iu8 v116, v116, v112, v93 neg_lo:[1,1,0]
	;; [unrolled: 33-line block ×6, first 2 shown]
	ds_load_b128 v[75:78], v45 offset:22528
	ds_load_b128 v[79:82], v45 offset:22784
	;; [unrolled: 1-line block ×14, first 2 shown]
	s_wait_dscnt 0x12
	v_dot4_i32_iu8 v180, v36, v16, v180 neg_lo:[1,1,0]
	v_dot4_i32_iu8 v181, v36, v17, v181 neg_lo:[1,1,0]
	;; [unrolled: 1-line block ×32, first 2 shown]
	ds_load_b128 v[36:39], v44 offset:7680
	ds_load_b128 v[67:70], v44 offset:7936
	buffer_load_b128 v[32:35], v35, s[28:31], null offen
	s_wait_dscnt 0x11
	v_dot4_i32_iu8 v103, v28, v40, v103 neg_lo:[1,1,0]
	v_dot4_i32_iu8 v107, v28, v41, v192 neg_lo:[1,1,0]
	;; [unrolled: 1-line block ×32, first 2 shown]
	buffer_load_b128 v[28:31], v104, s[28:31], null offen
	buffer_load_b128 v[20:23], v66, s[24:27], null offen
	v_add3_u32 v66, v106, v105, v66
	s_wait_dscnt 0x10
	v_dot4_i32_iu8 v104, v71, v40, v180 neg_lo:[1,1,0]
	v_dot4_i32_iu8 v180, v71, v41, v181 neg_lo:[1,1,0]
	;; [unrolled: 1-line block ×16, first 2 shown]
	buffer_load_b128 v[16:19], v66, s[24:27], null offen
	v_dot4_i32_iu8 v105, v71, v24, v157 neg_lo:[1,1,0]
	v_dot4_i32_iu8 v106, v71, v25, v158 neg_lo:[1,1,0]
	v_dot4_i32_iu8 v157, v71, v26, v159 neg_lo:[1,1,0]
	v_dot4_i32_iu8 v71, v71, v27, v160 neg_lo:[1,1,0]
	v_dot4_i32_iu8 v158, v72, v24, v169 neg_lo:[1,1,0]
	v_dot4_i32_iu8 v159, v72, v25, v173 neg_lo:[1,1,0]
	v_dot4_i32_iu8 v137, v72, v26, v137 neg_lo:[1,1,0]
	v_dot4_i32_iu8 v72, v72, v27, v170 neg_lo:[1,1,0]
	v_dot4_i32_iu8 v138, v73, v24, v138 neg_lo:[1,1,0]
	v_dot4_i32_iu8 v141, v73, v25, v141 neg_lo:[1,1,0]
	v_dot4_i32_iu8 v142, v73, v26, v142 neg_lo:[1,1,0]
	v_dot4_i32_iu8 v73, v73, v27, v171 neg_lo:[1,1,0]
	v_dot4_i32_iu8 v24, v74, v24, v174 neg_lo:[1,1,0]
	v_dot4_i32_iu8 v25, v74, v25, v175 neg_lo:[1,1,0]
	v_dot4_i32_iu8 v26, v74, v26, v189 neg_lo:[1,1,0]
	v_dot4_i32_iu8 v27, v74, v27, v190 neg_lo:[1,1,0]
	s_wait_dscnt 0xd
	v_dot4_i32_iu8 v74, v83, v75, v103 neg_lo:[1,1,0]
	v_dot4_i32_iu8 v103, v83, v76, v107 neg_lo:[1,1,0]
	v_dot4_i32_iu8 v107, v83, v77, v108 neg_lo:[1,1,0]
	v_dot4_i32_iu8 v108, v83, v78, v143 neg_lo:[1,1,0]
	v_dot4_i32_iu8 v143, v84, v75, v144 neg_lo:[1,1,0]
	v_dot4_i32_iu8 v144, v84, v76, v145 neg_lo:[1,1,0]
	v_dot4_i32_iu8 v145, v84, v77, v146 neg_lo:[1,1,0]
	v_dot4_i32_iu8 v146, v84, v78, v161 neg_lo:[1,1,0]
	v_dot4_i32_iu8 v160, v85, v75, v162 neg_lo:[1,1,0]
	v_dot4_i32_iu8 v161, v85, v76, v163 neg_lo:[1,1,0]
	v_dot4_i32_iu8 v139, v85, v77, v139 neg_lo:[1,1,0]
	v_dot4_i32_iu8 v140, v85, v78, v140 neg_lo:[1,1,0]
	v_dot4_i32_iu8 v147, v86, v75, v147 neg_lo:[1,1,0]
	v_dot4_i32_iu8 v148, v86, v76, v148 neg_lo:[1,1,0]
	v_dot4_i32_iu8 v153, v86, v77, v153 neg_lo:[1,1,0]
	v_dot4_i32_iu8 v154, v86, v78, v154 neg_lo:[1,1,0]
	v_dot4_i32_iu8 v155, v83, v79, v155 neg_lo:[1,1,0]
	v_dot4_i32_iu8 v156, v83, v80, v156 neg_lo:[1,1,0]
	v_dot4_i32_iu8 v162, v83, v81, v164 neg_lo:[1,1,0]
	v_dot4_i32_iu8 v83, v83, v82, v172 neg_lo:[1,1,0]
	v_dot4_i32_iu8 v149, v84, v79, v149 neg_lo:[1,1,0]
	v_dot4_i32_iu8 v163, v84, v80, v165 neg_lo:[1,1,0]
	v_dot4_i32_iu8 v164, v84, v81, v176 neg_lo:[1,1,0]
	v_dot4_i32_iu8 v84, v84, v82, v191 neg_lo:[1,1,0]
	v_dot4_i32_iu8 v150, v85, v79, v150 neg_lo:[1,1,0]
	v_dot4_i32_iu8 v165, v85, v80, v166 neg_lo:[1,1,0]
	v_dot4_i32_iu8 v166, v85, v81, v177 neg_lo:[1,1,0]
	v_dot4_i32_iu8 v85, v85, v82, v192 neg_lo:[1,1,0]
	v_dot4_i32_iu8 v167, v86, v79, v167 neg_lo:[1,1,0]
	v_dot4_i32_iu8 v169, v86, v80, v178 neg_lo:[1,1,0]
	v_dot4_i32_iu8 v170, v86, v81, v179 neg_lo:[1,1,0]
	v_dot4_i32_iu8 v86, v86, v82, v193 neg_lo:[1,1,0]
	s_wait_dscnt 0xc
	v_dot4_i32_iu8 v104, v87, v75, v104 neg_lo:[1,1,0]
	v_dot4_i32_iu8 v171, v87, v76, v180 neg_lo:[1,1,0]
	v_dot4_i32_iu8 v172, v87, v77, v181 neg_lo:[1,1,0]
	v_dot4_i32_iu8 v173, v87, v78, v182 neg_lo:[1,1,0]
	v_dot4_i32_iu8 v168, v88, v75, v168 neg_lo:[1,1,0]
	v_dot4_i32_iu8 v174, v88, v76, v183 neg_lo:[1,1,0]
	v_dot4_i32_iu8 v175, v88, v77, v184 neg_lo:[1,1,0]
	v_dot4_i32_iu8 v176, v88, v78, v185 neg_lo:[1,1,0]
	v_dot4_i32_iu8 v151, v89, v75, v151 neg_lo:[1,1,0]
	v_dot4_i32_iu8 v152, v89, v76, v152 neg_lo:[1,1,0]
	v_dot4_i32_iu8 v177, v89, v77, v186 neg_lo:[1,1,0]
	v_dot4_i32_iu8 v178, v89, v78, v187 neg_lo:[1,1,0]
	v_dot4_i32_iu8 v40, v90, v75, v40 neg_lo:[1,1,0]
	v_dot4_i32_iu8 v41, v90, v76, v41 neg_lo:[1,1,0]
	v_dot4_i32_iu8 v42, v90, v77, v42 neg_lo:[1,1,0]
	v_dot4_i32_iu8 v43, v90, v78, v43 neg_lo:[1,1,0]
	;; [unrolled: 33-line block ×4, first 2 shown]
	v_dot4_i32_iu8 v75, v109, v95, v75 neg_lo:[1,1,0]
	v_dot4_i32_iu8 v76, v109, v96, v76 neg_lo:[1,1,0]
	;; [unrolled: 1-line block ×16, first 2 shown]
	s_wait_loadcnt 0x7
	v_cndmask_b32_e64 v5, 0, v5, s7
	v_cndmask_b32_e64 v4, 0, v4, s7
	s_and_b32 s12, s11, s12
	s_and_b32 s4, s10, s4
	v_cndmask_b32_e64 v7, 0, v7, s7
	v_cndmask_b32_e64 v6, 0, v6, s7
	s_wait_loadcnt 0x6
	v_cndmask_b32_e64 v1, 0, v1, s3
	v_cndmask_b32_e64 v0, 0, v0, s3
	v_cmp_gt_i32_e64 s5, s57, v54
	v_cmp_gt_i32_e64 s6, s57, v53
	s_wait_alu 0xfffe
	s_and_b32 s60, s4, s8
	s_and_b32 s4, s2, s13
	;; [unrolled: 1-line block ×3, first 2 shown]
	s_wait_dscnt 0x5
	v_dot4_i32_iu8 v74, v121, v113, v74 neg_lo:[1,1,0]
	v_dot4_i32_iu8 v79, v121, v114, v79 neg_lo:[1,1,0]
	;; [unrolled: 1-line block ×32, first 2 shown]
	s_wait_dscnt 0x4
	v_dot4_i32_iu8 v102, v125, v113, v102 neg_lo:[1,1,0]
	v_dot4_i32_iu8 v104, v125, v114, v104 neg_lo:[1,1,0]
	;; [unrolled: 1-line block ×32, first 2 shown]
	v_cndmask_b32_e64 v3, 0, v3, s3
	v_cndmask_b32_e64 v2, 0, v2, s3
	ds_store_2addr_stride64_b32 v52, v4, v5 offset0:96 offset1:98
	ds_store_2addr_stride64_b32 v52, v6, v7 offset0:100 offset1:102
	;; [unrolled: 1-line block ×4, first 2 shown]
	s_wait_loadcnt 0x5
	s_wait_alu 0xfffe
	v_cndmask_b32_e64 v2, 0, v9, s4
	v_cndmask_b32_e64 v3, 0, v8, s4
	s_wait_loadcnt 0x4
	v_cndmask_b32_e64 v6, 0, v13, s8
	v_cndmask_b32_e64 v7, 0, v12, s8
	;; [unrolled: 1-line block ×6, first 2 shown]
	s_and_b32 s13, vcc_lo, s5
	s_and_b32 s12, vcc_lo, s6
	s_wait_dscnt 0x5
	v_dot4_i32_iu8 v125, v36, v129, v74 neg_lo:[1,1,0]
	v_dot4_i32_iu8 v126, v36, v130, v79 neg_lo:[1,1,0]
	;; [unrolled: 1-line block ×32, first 2 shown]
	s_wait_dscnt 0x4
	v_dot4_i32_iu8 v173, v67, v129, v102 neg_lo:[1,1,0]
	v_dot4_i32_iu8 v174, v67, v130, v104 neg_lo:[1,1,0]
	;; [unrolled: 1-line block ×32, first 2 shown]
	ds_store_2addr_stride64_b32 v52, v3, v2 offset0:32 offset1:34
	ds_store_2addr_stride64_b32 v52, v1, v0 offset0:36 offset1:38
	s_wait_loadcnt 0x3
	s_wait_alu 0xfffe
	v_cndmask_b32_e64 v69, 0, v35, s13
	v_cndmask_b32_e64 v70, 0, v34, s13
	;; [unrolled: 1-line block ×4, first 2 shown]
	s_wait_loadcnt 0x2
	v_cndmask_b32_e64 v67, 0, v31, s12
	v_cndmask_b32_e64 v68, 0, v30, s12
	;; [unrolled: 1-line block ×4, first 2 shown]
	ds_store_2addr_stride64_b32 v52, v7, v6 offset0:40 offset1:42
	ds_store_2addr_stride64_b32 v52, v5, v4 offset0:44 offset1:46
	s_wait_dscnt 0x0
	s_barrier_signal -1
	s_barrier_wait -1
	ds_load_b128 v[0:3], v44 offset:8192
	ds_load_b128 v[4:7], v45 offset:24576
	;; [unrolled: 1-line block ×21, first 2 shown]
	s_wait_dscnt 0x13
	v_dot4_i32_iu8 v125, v0, v4, v125 neg_lo:[1,1,0]
	v_dot4_i32_iu8 v126, v0, v5, v126 neg_lo:[1,1,0]
	v_dot4_i32_iu8 v127, v0, v6, v127 neg_lo:[1,1,0]
	v_dot4_i32_iu8 v128, v0, v7, v128 neg_lo:[1,1,0]
	v_dot4_i32_iu8 v147, v1, v4, v147 neg_lo:[1,1,0]
	v_dot4_i32_iu8 v148, v1, v5, v148 neg_lo:[1,1,0]
	v_dot4_i32_iu8 v149, v1, v6, v149 neg_lo:[1,1,0]
	v_dot4_i32_iu8 v150, v1, v7, v150 neg_lo:[1,1,0]
	v_dot4_i32_iu8 v151, v2, v4, v151 neg_lo:[1,1,0]
	v_dot4_i32_iu8 v152, v2, v5, v152 neg_lo:[1,1,0]
	v_dot4_i32_iu8 v153, v2, v6, v153 neg_lo:[1,1,0]
	v_dot4_i32_iu8 v154, v2, v7, v154 neg_lo:[1,1,0]
	v_dot4_i32_iu8 v155, v3, v4, v155 neg_lo:[1,1,0]
	v_dot4_i32_iu8 v156, v3, v5, v156 neg_lo:[1,1,0]
	v_dot4_i32_iu8 v157, v3, v6, v157 neg_lo:[1,1,0]
	v_dot4_i32_iu8 v158, v3, v7, v158 neg_lo:[1,1,0]
	s_wait_dscnt 0x12
	v_dot4_i32_iu8 v159, v0, v8, v159 neg_lo:[1,1,0]
	v_dot4_i32_iu8 v160, v0, v9, v160 neg_lo:[1,1,0]
	v_dot4_i32_iu8 v161, v0, v10, v161 neg_lo:[1,1,0]
	v_dot4_i32_iu8 v162, v0, v11, v162 neg_lo:[1,1,0]
	v_dot4_i32_iu8 v163, v1, v8, v163 neg_lo:[1,1,0]
	v_dot4_i32_iu8 v164, v1, v9, v164 neg_lo:[1,1,0]
	v_dot4_i32_iu8 v165, v1, v10, v165 neg_lo:[1,1,0]
	v_dot4_i32_iu8 v166, v1, v11, v166 neg_lo:[1,1,0]
	v_dot4_i32_iu8 v167, v2, v8, v167 neg_lo:[1,1,0]
	v_dot4_i32_iu8 v168, v2, v9, v168 neg_lo:[1,1,0]
	v_dot4_i32_iu8 v169, v2, v10, v169 neg_lo:[1,1,0]
	v_dot4_i32_iu8 v170, v2, v11, v170 neg_lo:[1,1,0]
	v_dot4_i32_iu8 v171, v3, v8, v171 neg_lo:[1,1,0]
	v_dot4_i32_iu8 v123, v3, v9, v123 neg_lo:[1,1,0]
	v_dot4_i32_iu8 v137, v3, v10, v137 neg_lo:[1,1,0]
	v_dot4_i32_iu8 v172, v3, v11, v172 neg_lo:[1,1,0]
	;; [unrolled: 17-line block ×3, first 2 shown]
	v_dot4_i32_iu8 v175, v12, v8, v175 neg_lo:[1,1,0]
	v_dot4_i32_iu8 v176, v12, v9, v176 neg_lo:[1,1,0]
	;; [unrolled: 1-line block ×16, first 2 shown]
	ds_load_b128 v[0:3], v45 offset:27136
	ds_load_b128 v[4:7], v45 offset:27392
	s_wait_dscnt 0x10
	v_dot4_i32_iu8 v187, v32, v24, v125 neg_lo:[1,1,0]
	v_dot4_i32_iu8 v188, v32, v25, v126 neg_lo:[1,1,0]
	;; [unrolled: 1-line block ×32, first 2 shown]
	s_wait_dscnt 0xf
	v_dot4_i32_iu8 v173, v36, v24, v173 neg_lo:[1,1,0]
	v_dot4_i32_iu8 v174, v36, v25, v174 neg_lo:[1,1,0]
	;; [unrolled: 1-line block ×32, first 2 shown]
	ds_load_b128 v[8:11], v44 offset:11008
	ds_load_b128 v[12:15], v44 offset:11264
	;; [unrolled: 1-line block ×4, first 2 shown]
	s_wait_dscnt 0x10
	v_dot4_i32_iu8 v136, v79, v40, v187 neg_lo:[1,1,0]
	v_dot4_i32_iu8 v186, v79, v41, v188 neg_lo:[1,1,0]
	;; [unrolled: 1-line block ×32, first 2 shown]
	s_wait_dscnt 0xf
	v_dot4_i32_iu8 v173, v83, v40, v173 neg_lo:[1,1,0]
	v_dot4_i32_iu8 v174, v83, v41, v174 neg_lo:[1,1,0]
	;; [unrolled: 1-line block ×32, first 2 shown]
	ds_load_b128 v[28:31], v44 offset:11520
	ds_load_b128 v[127:130], v44 offset:11776
	;; [unrolled: 1-line block ×4, first 2 shown]
	s_wait_dscnt 0x10
	v_dot4_i32_iu8 v136, v95, v87, v136 neg_lo:[1,1,0]
	v_dot4_i32_iu8 v182, v95, v88, v186 neg_lo:[1,1,0]
	;; [unrolled: 1-line block ×32, first 2 shown]
	s_wait_dscnt 0xf
	v_dot4_i32_iu8 v173, v99, v87, v173 neg_lo:[1,1,0]
	v_dot4_i32_iu8 v174, v99, v88, v174 neg_lo:[1,1,0]
	;; [unrolled: 1-line block ×32, first 2 shown]
	ds_load_b128 v[75:78], v44 offset:12032
	ds_load_b128 v[83:86], v44 offset:12288
	s_wait_dscnt 0xe
	v_dot4_i32_iu8 v188, v111, v103, v136 neg_lo:[1,1,0]
	v_dot4_i32_iu8 v182, v111, v104, v182 neg_lo:[1,1,0]
	;; [unrolled: 1-line block ×32, first 2 shown]
	s_wait_dscnt 0xd
	v_dot4_i32_iu8 v173, v115, v103, v173 neg_lo:[1,1,0]
	v_dot4_i32_iu8 v174, v115, v104, v174 neg_lo:[1,1,0]
	;; [unrolled: 1-line block ×32, first 2 shown]
	ds_load_b128 v[95:98], v45 offset:28672
	ds_load_b128 v[87:90], v45 offset:28928
	s_wait_dscnt 0xd
	v_dot4_i32_iu8 v110, v119, v0, v188 neg_lo:[1,1,0]
	v_dot4_i32_iu8 v176, v119, v1, v182 neg_lo:[1,1,0]
	v_dot4_i32_iu8 v177, v119, v2, v183 neg_lo:[1,1,0]
	v_dot4_i32_iu8 v178, v119, v3, v184 neg_lo:[1,1,0]
	v_dot4_i32_iu8 v147, v120, v0, v147 neg_lo:[1,1,0]
	v_dot4_i32_iu8 v148, v120, v1, v148 neg_lo:[1,1,0]
	v_dot4_i32_iu8 v149, v120, v2, v149 neg_lo:[1,1,0]
	v_dot4_i32_iu8 v150, v120, v3, v150 neg_lo:[1,1,0]
	v_dot4_i32_iu8 v151, v121, v0, v151 neg_lo:[1,1,0]
	v_dot4_i32_iu8 v152, v121, v1, v152 neg_lo:[1,1,0]
	v_dot4_i32_iu8 v153, v121, v2, v153 neg_lo:[1,1,0]
	v_dot4_i32_iu8 v154, v121, v3, v154 neg_lo:[1,1,0]
	v_dot4_i32_iu8 v155, v122, v0, v155 neg_lo:[1,1,0]
	v_dot4_i32_iu8 v156, v122, v1, v156 neg_lo:[1,1,0]
	v_dot4_i32_iu8 v157, v122, v2, v157 neg_lo:[1,1,0]
	v_dot4_i32_iu8 v158, v122, v3, v158 neg_lo:[1,1,0]
	s_wait_dscnt 0xc
	v_dot4_i32_iu8 v159, v119, v4, v159 neg_lo:[1,1,0]
	v_dot4_i32_iu8 v160, v119, v5, v160 neg_lo:[1,1,0]
	v_dot4_i32_iu8 v161, v119, v6, v161 neg_lo:[1,1,0]
	v_dot4_i32_iu8 v162, v119, v7, v162 neg_lo:[1,1,0]
	v_dot4_i32_iu8 v163, v120, v4, v163 neg_lo:[1,1,0]
	v_dot4_i32_iu8 v164, v120, v5, v164 neg_lo:[1,1,0]
	v_dot4_i32_iu8 v165, v120, v6, v165 neg_lo:[1,1,0]
	v_dot4_i32_iu8 v166, v120, v7, v166 neg_lo:[1,1,0]
	v_dot4_i32_iu8 v167, v121, v4, v167 neg_lo:[1,1,0]
	v_dot4_i32_iu8 v168, v121, v5, v168 neg_lo:[1,1,0]
	v_dot4_i32_iu8 v169, v121, v6, v169 neg_lo:[1,1,0]
	v_dot4_i32_iu8 v170, v121, v7, v170 neg_lo:[1,1,0]
	v_dot4_i32_iu8 v171, v122, v4, v171 neg_lo:[1,1,0]
	v_dot4_i32_iu8 v179, v122, v5, v185 neg_lo:[1,1,0]
	v_dot4_i32_iu8 v180, v122, v6, v189 neg_lo:[1,1,0]
	v_dot4_i32_iu8 v172, v122, v7, v172 neg_lo:[1,1,0]
	;; [unrolled: 17-line block ×3, first 2 shown]
	v_dot4_i32_iu8 v40, v8, v4, v40 neg_lo:[1,1,0]
	v_dot4_i32_iu8 v41, v8, v5, v41 neg_lo:[1,1,0]
	v_dot4_i32_iu8 v42, v8, v6, v42 neg_lo:[1,1,0]
	v_dot4_i32_iu8 v8, v8, v7, v36 neg_lo:[1,1,0]
	v_dot4_i32_iu8 v43, v9, v4, v43 neg_lo:[1,1,0]
	v_dot4_i32_iu8 v103, v9, v5, v103 neg_lo:[1,1,0]
	v_dot4_i32_iu8 v104, v9, v6, v104 neg_lo:[1,1,0]
	v_dot4_i32_iu8 v9, v9, v7, v37 neg_lo:[1,1,0]
	v_dot4_i32_iu8 v105, v10, v4, v105 neg_lo:[1,1,0]
	v_dot4_i32_iu8 v106, v10, v5, v106 neg_lo:[1,1,0]
	v_dot4_i32_iu8 v175, v10, v6, v175 neg_lo:[1,1,0]
	v_dot4_i32_iu8 v10, v10, v7, v38 neg_lo:[1,1,0]
	v_dot4_i32_iu8 v107, v11, v4, v107 neg_lo:[1,1,0]
	v_dot4_i32_iu8 v108, v11, v5, v108 neg_lo:[1,1,0]
	v_dot4_i32_iu8 v109, v11, v6, v109 neg_lo:[1,1,0]
	v_dot4_i32_iu8 v11, v11, v7, v39 neg_lo:[1,1,0]
	s_wait_dscnt 0x9
	v_dot4_i32_iu8 v110, v12, v32, v110 neg_lo:[1,1,0]
	v_dot4_i32_iu8 v176, v12, v33, v176 neg_lo:[1,1,0]
	v_dot4_i32_iu8 v177, v12, v34, v177 neg_lo:[1,1,0]
	v_dot4_i32_iu8 v178, v12, v35, v178 neg_lo:[1,1,0]
	v_dot4_i32_iu8 v147, v13, v32, v147 neg_lo:[1,1,0]
	v_dot4_i32_iu8 v148, v13, v33, v148 neg_lo:[1,1,0]
	v_dot4_i32_iu8 v149, v13, v34, v149 neg_lo:[1,1,0]
	v_dot4_i32_iu8 v150, v13, v35, v150 neg_lo:[1,1,0]
	v_dot4_i32_iu8 v151, v14, v32, v151 neg_lo:[1,1,0]
	v_dot4_i32_iu8 v152, v14, v33, v152 neg_lo:[1,1,0]
	v_dot4_i32_iu8 v153, v14, v34, v153 neg_lo:[1,1,0]
	v_dot4_i32_iu8 v154, v14, v35, v154 neg_lo:[1,1,0]
	v_dot4_i32_iu8 v155, v15, v32, v155 neg_lo:[1,1,0]
	v_dot4_i32_iu8 v156, v15, v33, v156 neg_lo:[1,1,0]
	v_dot4_i32_iu8 v157, v15, v34, v157 neg_lo:[1,1,0]
	v_dot4_i32_iu8 v158, v15, v35, v158 neg_lo:[1,1,0]
	s_wait_dscnt 0x8
	;; [unrolled: 17-line block ×3, first 2 shown]
	v_dot4_i32_iu8 v171, v28, v32, v173 neg_lo:[1,1,0]
	v_dot4_i32_iu8 v172, v28, v33, v174 neg_lo:[1,1,0]
	v_dot4_i32_iu8 v173, v28, v34, v181 neg_lo:[1,1,0]
	v_dot4_i32_iu8 v174, v28, v35, v182 neg_lo:[1,1,0]
	v_dot4_i32_iu8 v179, v29, v32, v183 neg_lo:[1,1,0]
	v_dot4_i32_iu8 v180, v29, v33, v184 neg_lo:[1,1,0]
	v_dot4_i32_iu8 v181, v29, v34, v185 neg_lo:[1,1,0]
	v_dot4_i32_iu8 v182, v29, v35, v186 neg_lo:[1,1,0]
	v_dot4_i32_iu8 v183, v30, v32, v187 neg_lo:[1,1,0]
	v_dot4_i32_iu8 v184, v30, v33, v188 neg_lo:[1,1,0]
	v_dot4_i32_iu8 v185, v30, v34, v189 neg_lo:[1,1,0]
	v_dot4_i32_iu8 v186, v30, v35, v190 neg_lo:[1,1,0]
	v_dot4_i32_iu8 v32, v31, v32, v191 neg_lo:[1,1,0]
	v_dot4_i32_iu8 v33, v31, v33, v192 neg_lo:[1,1,0]
	v_dot4_i32_iu8 v34, v31, v34, v193 neg_lo:[1,1,0]
	v_dot4_i32_iu8 v35, v31, v35, v194 neg_lo:[1,1,0]
	v_dot4_i32_iu8 v187, v28, v123, v40 neg_lo:[1,1,0]
	v_dot4_i32_iu8 v188, v28, v124, v41 neg_lo:[1,1,0]
	v_dot4_i32_iu8 v189, v28, v125, v42 neg_lo:[1,1,0]
	v_dot4_i32_iu8 v190, v28, v126, v8 neg_lo:[1,1,0]
	v_dot4_i32_iu8 v191, v29, v123, v43 neg_lo:[1,1,0]
	v_dot4_i32_iu8 v103, v29, v124, v103 neg_lo:[1,1,0]
	v_dot4_i32_iu8 v104, v29, v125, v104 neg_lo:[1,1,0]
	v_dot4_i32_iu8 v192, v29, v126, v9 neg_lo:[1,1,0]
	v_dot4_i32_iu8 v105, v30, v123, v105 neg_lo:[1,1,0]
	v_dot4_i32_iu8 v106, v30, v124, v106 neg_lo:[1,1,0]
	v_dot4_i32_iu8 v175, v30, v125, v175 neg_lo:[1,1,0]
	v_dot4_i32_iu8 v193, v30, v126, v10 neg_lo:[1,1,0]
	v_dot4_i32_iu8 v107, v31, v123, v107 neg_lo:[1,1,0]
	v_dot4_i32_iu8 v108, v31, v124, v108 neg_lo:[1,1,0]
	v_dot4_i32_iu8 v109, v31, v125, v109 neg_lo:[1,1,0]
	v_dot4_i32_iu8 v123, v31, v126, v11 neg_lo:[1,1,0]
	s_and_b32 s6, s2, s60
	ds_load_b128 v[91:94], v45 offset:29184
	ds_load_b128 v[99:102], v45 offset:29440
	;; [unrolled: 1-line block ×14, first 2 shown]
	s_wait_dscnt 0x13
	v_dot4_i32_iu8 v110, v127, v79, v110 neg_lo:[1,1,0]
	v_dot4_i32_iu8 v124, v127, v80, v176 neg_lo:[1,1,0]
	;; [unrolled: 1-line block ×16, first 2 shown]
	s_wait_dscnt 0x12
	v_dot4_i32_iu8 v159, v127, v131, v159 neg_lo:[1,1,0]
	v_dot4_i32_iu8 v160, v127, v132, v160 neg_lo:[1,1,0]
	;; [unrolled: 1-line block ×16, first 2 shown]
	ds_load_b128 v[8:11], v45 offset:32256
	ds_load_b128 v[12:15], v45 offset:32512
	s_wait_dscnt 0x13
	v_dot4_i32_iu8 v171, v75, v79, v171 neg_lo:[1,1,0]
	v_dot4_i32_iu8 v172, v75, v80, v172 neg_lo:[1,1,0]
	;; [unrolled: 1-line block ×32, first 2 shown]
	ds_load_b128 v[75:78], v44 offset:15872
	ds_load_b128 v[32:35], v44 offset:16128
	s_wait_loadcnt 0x1
	s_wait_alu 0xfffe
	v_cndmask_b32_e64 v104, 0, v23, s6
	v_cndmask_b32_e64 v105, 0, v22, s6
	;; [unrolled: 1-line block ×4, first 2 shown]
	ds_load_b128 v[20:23], v44 offset:12544
	ds_load_b128 v[79:82], v44 offset:12800
	ds_store_2addr_stride64_b32 v52, v74, v73 offset0:64 offset1:66
	s_wait_dscnt 0x16
	v_dot4_i32_iu8 v73, v83, v95, v110 neg_lo:[1,1,0]
	v_dot4_i32_iu8 v74, v83, v96, v124 neg_lo:[1,1,0]
	;; [unrolled: 1-line block ×16, first 2 shown]
	s_wait_dscnt 0x15
	v_dot4_i32_iu8 v154, v83, v87, v159 neg_lo:[1,1,0]
	v_dot4_i32_iu8 v155, v83, v88, v160 neg_lo:[1,1,0]
	;; [unrolled: 1-line block ×16, first 2 shown]
	ds_load_b128 v[83:86], v44 offset:13056
	s_wait_dscnt 0x3
	v_dot4_i32_iu8 v166, v20, v95, v171 neg_lo:[1,1,0]
	v_dot4_i32_iu8 v167, v20, v96, v172 neg_lo:[1,1,0]
	;; [unrolled: 1-line block ×32, first 2 shown]
	ds_load_b128 v[20:23], v44 offset:13312
	ds_load_b128 v[87:90], v44 offset:13568
	s_wait_dscnt 0x4
	v_dot4_i32_iu8 v73, v79, v91, v73 neg_lo:[1,1,0]
	v_dot4_i32_iu8 v74, v79, v92, v74 neg_lo:[1,1,0]
	;; [unrolled: 1-line block ×32, first 2 shown]
	ds_load_b128 v[79:82], v44 offset:13824
	s_wait_dscnt 0x3
	v_dot4_i32_iu8 v166, v83, v91, v166 neg_lo:[1,1,0]
	v_dot4_i32_iu8 v167, v83, v92, v167 neg_lo:[1,1,0]
	;; [unrolled: 1-line block ×16, first 2 shown]
	ds_load_b128 v[91:94], v44 offset:14080
	v_cmp_gt_i32_e64 s11, s23, v65
	v_dot4_i32_iu8 v179, v83, v99, v179 neg_lo:[1,1,0]
	v_dot4_i32_iu8 v180, v83, v100, v180 neg_lo:[1,1,0]
	;; [unrolled: 1-line block ×16, first 2 shown]
	ds_load_b128 v[83:86], v44 offset:14336
	ds_load_b128 v[95:98], v44 offset:14592
	v_cmp_le_i32_e64 s10, s56, v65
	s_and_b32 s5, s11, s9
	ds_store_2addr_stride64_b32 v52, v70, v69 offset0:68 offset1:70
	ds_store_2addr_stride64_b32 v52, v72, v71 offset0:72 offset1:74
	ds_load_b128 v[69:72], v44 offset:14848
	s_wait_dscnt 0x8
	v_dot4_i32_iu8 v73, v20, v111, v73 neg_lo:[1,1,0]
	v_dot4_i32_iu8 v74, v20, v112, v74 neg_lo:[1,1,0]
	;; [unrolled: 1-line block ×32, first 2 shown]
	ds_load_b128 v[20:23], v44 offset:15104
	s_wait_alu 0xfffe
	s_and_b32 s5, s5, s10
	ds_store_2addr_stride64_b32 v52, v68, v67 offset0:76 offset1:78
	s_wait_alu 0xfffe
	s_and_b32 s5, s2, s5
	s_wait_dscnt 0x9
	v_dot4_i32_iu8 v67, v88, v111, v170 neg_lo:[1,1,0]
	s_wait_loadcnt 0x0
	s_wait_alu 0xfffe
	v_cndmask_b32_e64 v162, 0, v19, s5
	v_cndmask_b32_e64 v163, 0, v18, s5
	;; [unrolled: 1-line block ×4, first 2 shown]
	v_dot4_i32_iu8 v16, v87, v111, v166 neg_lo:[1,1,0]
	v_dot4_i32_iu8 v17, v87, v112, v167 neg_lo:[1,1,0]
	v_dot4_i32_iu8 v18, v87, v113, v168 neg_lo:[1,1,0]
	v_dot4_i32_iu8 v19, v87, v114, v169 neg_lo:[1,1,0]
	v_dot4_i32_iu8 v68, v88, v112, v171 neg_lo:[1,1,0]
	v_dot4_i32_iu8 v166, v88, v113, v172 neg_lo:[1,1,0]
	v_dot4_i32_iu8 v167, v88, v114, v173 neg_lo:[1,1,0]
	v_dot4_i32_iu8 v168, v89, v111, v174 neg_lo:[1,1,0]
	v_dot4_i32_iu8 v169, v89, v112, v176 neg_lo:[1,1,0]
	v_dot4_i32_iu8 v170, v89, v113, v177 neg_lo:[1,1,0]
	v_dot4_i32_iu8 v171, v89, v114, v178 neg_lo:[1,1,0]
	v_dot4_i32_iu8 v111, v90, v111, v189 neg_lo:[1,1,0]
	v_dot4_i32_iu8 v112, v90, v112, v190 neg_lo:[1,1,0]
	v_dot4_i32_iu8 v113, v90, v113, v191 neg_lo:[1,1,0]
	v_dot4_i32_iu8 v114, v90, v114, v192 neg_lo:[1,1,0]
	v_dot4_i32_iu8 v172, v87, v135, v179 neg_lo:[1,1,0]
	v_dot4_i32_iu8 v173, v87, v136, v180 neg_lo:[1,1,0]
	v_dot4_i32_iu8 v174, v87, v137, v181 neg_lo:[1,1,0]
	v_dot4_i32_iu8 v87, v87, v138, v182 neg_lo:[1,1,0]
	v_dot4_i32_iu8 v176, v88, v135, v183 neg_lo:[1,1,0]
	v_dot4_i32_iu8 v103, v88, v136, v103 neg_lo:[1,1,0]
	v_dot4_i32_iu8 v177, v88, v137, v184 neg_lo:[1,1,0]
	v_dot4_i32_iu8 v88, v88, v138, v185 neg_lo:[1,1,0]
	v_dot4_i32_iu8 v178, v89, v135, v186 neg_lo:[1,1,0]
	v_dot4_i32_iu8 v179, v89, v136, v187 neg_lo:[1,1,0]
	v_dot4_i32_iu8 v175, v89, v137, v175 neg_lo:[1,1,0]
	v_dot4_i32_iu8 v89, v89, v138, v188 neg_lo:[1,1,0]
	v_dot4_i32_iu8 v99, v90, v135, v99 neg_lo:[1,1,0]
	v_dot4_i32_iu8 v100, v90, v136, v100 neg_lo:[1,1,0]
	v_dot4_i32_iu8 v101, v90, v137, v101 neg_lo:[1,1,0]
	v_dot4_i32_iu8 v90, v90, v138, v102 neg_lo:[1,1,0]
	s_wait_dscnt 0x8
	v_dot4_i32_iu8 v73, v79, v115, v73 neg_lo:[1,1,0]
	v_dot4_i32_iu8 v74, v79, v116, v74 neg_lo:[1,1,0]
	v_dot4_i32_iu8 v102, v79, v117, v108 neg_lo:[1,1,0]
	v_dot4_i32_iu8 v108, v79, v118, v109 neg_lo:[1,1,0]
	v_dot4_i32_iu8 v109, v80, v115, v110 neg_lo:[1,1,0]
	v_dot4_i32_iu8 v110, v80, v116, v123 neg_lo:[1,1,0]
	v_dot4_i32_iu8 v123, v80, v117, v124 neg_lo:[1,1,0]
	v_dot4_i32_iu8 v124, v80, v118, v125 neg_lo:[1,1,0]
	v_dot4_i32_iu8 v125, v81, v115, v126 neg_lo:[1,1,0]
	v_dot4_i32_iu8 v126, v81, v116, v131 neg_lo:[1,1,0]
	v_dot4_i32_iu8 v131, v81, v117, v132 neg_lo:[1,1,0]
	v_dot4_i32_iu8 v132, v81, v118, v133 neg_lo:[1,1,0]
	v_dot4_i32_iu8 v133, v82, v115, v134 neg_lo:[1,1,0]
	v_dot4_i32_iu8 v134, v82, v116, v147 neg_lo:[1,1,0]
	v_dot4_i32_iu8 v135, v82, v117, v148 neg_lo:[1,1,0]
	v_dot4_i32_iu8 v136, v82, v118, v149 neg_lo:[1,1,0]
	v_dot4_i32_iu8 v137, v79, v139, v150 neg_lo:[1,1,0]
	v_dot4_i32_iu8 v138, v79, v140, v151 neg_lo:[1,1,0]
	v_dot4_i32_iu8 v147, v79, v141, v152 neg_lo:[1,1,0]
	v_dot4_i32_iu8 v79, v79, v142, v127 neg_lo:[1,1,0]
	v_dot4_i32_iu8 v127, v80, v139, v153 neg_lo:[1,1,0]
	v_dot4_i32_iu8 v148, v80, v140, v154 neg_lo:[1,1,0]
	v_dot4_i32_iu8 v149, v80, v141, v155 neg_lo:[1,1,0]
	v_dot4_i32_iu8 v80, v80, v142, v128 neg_lo:[1,1,0]
	v_dot4_i32_iu8 v128, v81, v139, v156 neg_lo:[1,1,0]
	v_dot4_i32_iu8 v150, v81, v140, v157 neg_lo:[1,1,0]
	v_dot4_i32_iu8 v151, v81, v141, v158 neg_lo:[1,1,0]
	v_dot4_i32_iu8 v81, v81, v142, v129 neg_lo:[1,1,0]
	v_dot4_i32_iu8 v129, v82, v139, v159 neg_lo:[1,1,0]
	v_dot4_i32_iu8 v152, v82, v140, v160 neg_lo:[1,1,0]
	v_dot4_i32_iu8 v153, v82, v141, v161 neg_lo:[1,1,0]
	v_dot4_i32_iu8 v82, v82, v142, v130 neg_lo:[1,1,0]
	s_wait_dscnt 0x7
	v_dot4_i32_iu8 v16, v91, v115, v16 neg_lo:[1,1,0]
	;; [unrolled: 33-line block ×6, first 2 shown]
	v_dot4_i32_iu8 v17, v20, v37, v17 neg_lo:[1,1,0]
	v_dot4_i32_iu8 v18, v20, v38, v18 neg_lo:[1,1,0]
	;; [unrolled: 1-line block ×95, first 2 shown]
	v_add_nc_u32_e32 v53, s42, v53
	v_add_nc_u32_e32 v54, s42, v54
	;; [unrolled: 1-line block ×8, first 2 shown]
	v_dot4_i32_iu8 v103, v75, v8, v27 neg_lo:[1,1,0]
	v_dot4_i32_iu8 v102, v75, v9, v73 neg_lo:[1,1,0]
	;; [unrolled: 1-line block ×64, first 2 shown]
	s_add_co_i32 s21, s21, 32
	s_add_co_i32 s20, s20, s49
	s_wait_alu 0xfffe
	s_cmp_lt_i32 s21, s40
	ds_store_2addr_stride64_b32 v52, v107, v106 offset1:2
	ds_store_2addr_stride64_b32 v52, v105, v104 offset0:4 offset1:6
	ds_store_2addr_stride64_b32 v52, v165, v164 offset0:8 offset1:10
	;; [unrolled: 1-line block ×3, first 2 shown]
	s_cbranch_scc1 .LBB2_1
; %bb.2:
	s_wait_dscnt 0x0
	s_barrier_signal -1
	s_barrier_wait -1
	global_inv scope:SCOPE_SE
	ds_load_b128 v[0:3], v44
	ds_load_b128 v[4:7], v45 offset:16384
	ds_load_b128 v[8:11], v45 offset:16640
	;; [unrolled: 1-line block ×3, first 2 shown]
	s_load_b64 s[0:1], s[0:1], 0x10
	s_mul_u64 s[4:5], s[16:17], s[50:51]
	s_mov_b32 s23, 0x31004000
	s_mul_u64 s[2:3], s[18:19], s[50:51]
	s_wait_alu 0xfffe
	s_add_nc_u64 s[12:13], s[46:47], s[2:3]
	s_lshl_b32 s2, s45, 7
	s_lshl_b32 s3, s35, 6
	s_wait_alu 0xfffe
	s_and_b32 s13, s13, 0xffff
	s_wait_dscnt 0x1
	v_dot4_i32_iu8 v63, v0, v8, v95 neg_lo:[1,1,0]
	v_dot4_i32_iu8 v35, v0, v4, v103 neg_lo:[1,1,0]
	;; [unrolled: 1-line block ×32, first 2 shown]
	ds_load_b128 v[0:3], v44 offset:512
	s_wait_dscnt 0x1
	v_dot4_i32_iu8 v67, v12, v4, v67 neg_lo:[1,1,0]
	v_dot4_i32_iu8 v43, v12, v5, v43 neg_lo:[1,1,0]
	;; [unrolled: 1-line block ×15, first 2 shown]
	ds_load_b128 v[37:40], v45 offset:16896
	v_dot4_i32_iu8 v75, v15, v7, v75 neg_lo:[1,1,0]
	v_dot4_i32_iu8 v36, v12, v8, v36 neg_lo:[1,1,0]
	;; [unrolled: 1-line block ×15, first 2 shown]
	ds_load_b128 v[4:7], v45 offset:17152
	v_dot4_i32_iu8 v32, v15, v10, v32 neg_lo:[1,1,0]
	v_dot4_i32_iu8 v33, v15, v11, v33 neg_lo:[1,1,0]
	ds_load_b128 v[8:11], v44 offset:768
	s_wait_dscnt 0x2
	v_dot4_i32_iu8 v35, v0, v37, v35 neg_lo:[1,1,0]
	v_dot4_i32_iu8 v48, v0, v38, v48 neg_lo:[1,1,0]
	;; [unrolled: 1-line block ×16, first 2 shown]
	s_wait_dscnt 0x1
	v_dot4_i32_iu8 v63, v0, v4, v63 neg_lo:[1,1,0]
	v_dot4_i32_iu8 v64, v0, v5, v64 neg_lo:[1,1,0]
	;; [unrolled: 1-line block ×16, first 2 shown]
	ds_load_b128 v[0:3], v44 offset:1024
	s_wait_dscnt 0x1
	v_dot4_i32_iu8 v67, v8, v37, v67 neg_lo:[1,1,0]
	v_dot4_i32_iu8 v43, v8, v38, v43 neg_lo:[1,1,0]
	;; [unrolled: 1-line block ×15, first 2 shown]
	ds_load_b128 v[12:15], v45 offset:17408
	v_dot4_i32_iu8 v39, v11, v40, v75 neg_lo:[1,1,0]
	v_dot4_i32_iu8 v36, v8, v4, v36 neg_lo:[1,1,0]
	;; [unrolled: 1-line block ×15, first 2 shown]
	ds_load_b128 v[16:19], v45 offset:17664
	v_dot4_i32_iu8 v32, v11, v6, v32 neg_lo:[1,1,0]
	v_dot4_i32_iu8 v33, v11, v7, v33 neg_lo:[1,1,0]
	ds_load_b128 v[4:7], v44 offset:1280
	s_wait_dscnt 0x2
	v_dot4_i32_iu8 v35, v0, v12, v35 neg_lo:[1,1,0]
	v_dot4_i32_iu8 v48, v0, v13, v48 neg_lo:[1,1,0]
	v_dot4_i32_iu8 v49, v0, v14, v49 neg_lo:[1,1,0]
	v_dot4_i32_iu8 v50, v0, v15, v50 neg_lo:[1,1,0]
	v_dot4_i32_iu8 v51, v1, v12, v51 neg_lo:[1,1,0]
	v_dot4_i32_iu8 v52, v1, v13, v52 neg_lo:[1,1,0]
	v_dot4_i32_iu8 v53, v1, v14, v53 neg_lo:[1,1,0]
	v_dot4_i32_iu8 v54, v1, v15, v54 neg_lo:[1,1,0]
	v_dot4_i32_iu8 v55, v2, v12, v55 neg_lo:[1,1,0]
	v_dot4_i32_iu8 v56, v2, v13, v56 neg_lo:[1,1,0]
	v_dot4_i32_iu8 v57, v2, v14, v57 neg_lo:[1,1,0]
	v_dot4_i32_iu8 v58, v2, v15, v58 neg_lo:[1,1,0]
	v_dot4_i32_iu8 v59, v3, v12, v59 neg_lo:[1,1,0]
	v_dot4_i32_iu8 v60, v3, v13, v60 neg_lo:[1,1,0]
	v_dot4_i32_iu8 v61, v3, v14, v61 neg_lo:[1,1,0]
	v_dot4_i32_iu8 v62, v3, v15, v62 neg_lo:[1,1,0]
	s_wait_dscnt 0x1
	v_dot4_i32_iu8 v63, v0, v16, v63 neg_lo:[1,1,0]
	v_dot4_i32_iu8 v64, v0, v17, v64 neg_lo:[1,1,0]
	;; [unrolled: 1-line block ×16, first 2 shown]
	ds_load_b128 v[0:3], v44 offset:1536
	s_wait_dscnt 0x1
	v_dot4_i32_iu8 v67, v4, v12, v67 neg_lo:[1,1,0]
	v_dot4_i32_iu8 v43, v4, v13, v43 neg_lo:[1,1,0]
	;; [unrolled: 1-line block ×15, first 2 shown]
	ds_load_b128 v[8:11], v45 offset:17920
	v_dot4_i32_iu8 v39, v7, v15, v39 neg_lo:[1,1,0]
	v_dot4_i32_iu8 v36, v4, v16, v36 neg_lo:[1,1,0]
	;; [unrolled: 1-line block ×15, first 2 shown]
	ds_load_b128 v[12:15], v45 offset:18176
	v_dot4_i32_iu8 v32, v7, v18, v32 neg_lo:[1,1,0]
	v_dot4_i32_iu8 v33, v7, v19, v33 neg_lo:[1,1,0]
	ds_load_b128 v[4:7], v44 offset:1792
	s_wait_dscnt 0x2
	v_dot4_i32_iu8 v35, v0, v8, v35 neg_lo:[1,1,0]
	v_dot4_i32_iu8 v48, v0, v9, v48 neg_lo:[1,1,0]
	;; [unrolled: 1-line block ×16, first 2 shown]
	s_wait_dscnt 0x1
	v_dot4_i32_iu8 v63, v0, v12, v63 neg_lo:[1,1,0]
	v_dot4_i32_iu8 v64, v0, v13, v64 neg_lo:[1,1,0]
	;; [unrolled: 1-line block ×16, first 2 shown]
	ds_load_b128 v[0:3], v44 offset:2048
	s_wait_dscnt 0x1
	v_dot4_i32_iu8 v67, v4, v8, v67 neg_lo:[1,1,0]
	v_dot4_i32_iu8 v43, v4, v9, v43 neg_lo:[1,1,0]
	v_dot4_i32_iu8 v42, v4, v10, v42 neg_lo:[1,1,0]
	v_dot4_i32_iu8 v41, v4, v11, v41 neg_lo:[1,1,0]
	v_dot4_i32_iu8 v84, v5, v8, v84 neg_lo:[1,1,0]
	v_dot4_i32_iu8 v85, v5, v9, v85 neg_lo:[1,1,0]
	v_dot4_i32_iu8 v86, v5, v10, v86 neg_lo:[1,1,0]
	v_dot4_i32_iu8 v87, v5, v11, v87 neg_lo:[1,1,0]
	v_dot4_i32_iu8 v31, v6, v8, v31 neg_lo:[1,1,0]
	v_dot4_i32_iu8 v29, v6, v9, v29 neg_lo:[1,1,0]
	v_dot4_i32_iu8 v27, v6, v10, v27 neg_lo:[1,1,0]
	v_dot4_i32_iu8 v25, v6, v11, v25 neg_lo:[1,1,0]
	v_dot4_i32_iu8 v23, v7, v8, v23 neg_lo:[1,1,0]
	v_dot4_i32_iu8 v37, v7, v9, v37 neg_lo:[1,1,0]
	v_dot4_i32_iu8 v38, v7, v10, v38 neg_lo:[1,1,0]
	ds_load_b128 v[16:19], v45 offset:18432
	v_dot4_i32_iu8 v39, v7, v11, v39 neg_lo:[1,1,0]
	v_dot4_i32_iu8 v36, v4, v12, v36 neg_lo:[1,1,0]
	;; [unrolled: 1-line block ×15, first 2 shown]
	ds_load_b128 v[8:11], v45 offset:18688
	v_dot4_i32_iu8 v32, v7, v14, v32 neg_lo:[1,1,0]
	v_dot4_i32_iu8 v33, v7, v15, v33 neg_lo:[1,1,0]
	ds_load_b128 v[4:7], v44 offset:2304
	s_wait_dscnt 0x2
	v_dot4_i32_iu8 v35, v0, v16, v35 neg_lo:[1,1,0]
	v_dot4_i32_iu8 v48, v0, v17, v48 neg_lo:[1,1,0]
	;; [unrolled: 1-line block ×16, first 2 shown]
	s_wait_dscnt 0x1
	v_dot4_i32_iu8 v63, v0, v8, v63 neg_lo:[1,1,0]
	v_dot4_i32_iu8 v64, v0, v9, v64 neg_lo:[1,1,0]
	;; [unrolled: 1-line block ×16, first 2 shown]
	ds_load_b128 v[0:3], v44 offset:2560
	s_wait_dscnt 0x1
	v_dot4_i32_iu8 v67, v4, v16, v67 neg_lo:[1,1,0]
	v_dot4_i32_iu8 v43, v4, v17, v43 neg_lo:[1,1,0]
	;; [unrolled: 1-line block ×15, first 2 shown]
	ds_load_b128 v[12:15], v45 offset:18944
	v_dot4_i32_iu8 v39, v7, v19, v39 neg_lo:[1,1,0]
	v_dot4_i32_iu8 v36, v4, v8, v36 neg_lo:[1,1,0]
	;; [unrolled: 1-line block ×15, first 2 shown]
	ds_load_b128 v[16:19], v45 offset:19200
	v_dot4_i32_iu8 v32, v7, v10, v32 neg_lo:[1,1,0]
	v_dot4_i32_iu8 v33, v7, v11, v33 neg_lo:[1,1,0]
	ds_load_b128 v[4:7], v44 offset:2816
	s_wait_dscnt 0x2
	v_dot4_i32_iu8 v35, v0, v12, v35 neg_lo:[1,1,0]
	v_dot4_i32_iu8 v48, v0, v13, v48 neg_lo:[1,1,0]
	;; [unrolled: 1-line block ×16, first 2 shown]
	s_wait_dscnt 0x1
	v_dot4_i32_iu8 v63, v0, v16, v63 neg_lo:[1,1,0]
	v_dot4_i32_iu8 v64, v0, v17, v64 neg_lo:[1,1,0]
	v_dot4_i32_iu8 v65, v0, v18, v65 neg_lo:[1,1,0]
	v_dot4_i32_iu8 v66, v0, v19, v66 neg_lo:[1,1,0]
	v_dot4_i32_iu8 v80, v1, v16, v80 neg_lo:[1,1,0]
	v_dot4_i32_iu8 v81, v1, v17, v81 neg_lo:[1,1,0]
	v_dot4_i32_iu8 v82, v1, v18, v82 neg_lo:[1,1,0]
	v_dot4_i32_iu8 v83, v1, v19, v83 neg_lo:[1,1,0]
	v_dot4_i32_iu8 v79, v2, v16, v79 neg_lo:[1,1,0]
	v_dot4_i32_iu8 v76, v2, v17, v76 neg_lo:[1,1,0]
	v_dot4_i32_iu8 v74, v2, v18, v74 neg_lo:[1,1,0]
	v_dot4_i32_iu8 v73, v2, v19, v73 neg_lo:[1,1,0]
	v_dot4_i32_iu8 v72, v3, v16, v72 neg_lo:[1,1,0]
	v_dot4_i32_iu8 v71, v3, v17, v71 neg_lo:[1,1,0]
	v_dot4_i32_iu8 v70, v3, v18, v70 neg_lo:[1,1,0]
	v_dot4_i32_iu8 v68, v3, v19, v68 neg_lo:[1,1,0]
	ds_load_b128 v[0:3], v44 offset:3072
	s_wait_dscnt 0x1
	v_dot4_i32_iu8 v67, v4, v12, v67 neg_lo:[1,1,0]
	v_dot4_i32_iu8 v43, v4, v13, v43 neg_lo:[1,1,0]
	;; [unrolled: 1-line block ×15, first 2 shown]
	ds_load_b128 v[8:11], v45 offset:19456
	v_dot4_i32_iu8 v39, v7, v15, v39 neg_lo:[1,1,0]
	v_dot4_i32_iu8 v36, v4, v16, v36 neg_lo:[1,1,0]
	;; [unrolled: 1-line block ×15, first 2 shown]
	ds_load_b128 v[12:15], v45 offset:19712
	v_dot4_i32_iu8 v32, v7, v18, v32 neg_lo:[1,1,0]
	v_dot4_i32_iu8 v33, v7, v19, v33 neg_lo:[1,1,0]
	ds_load_b128 v[4:7], v44 offset:3328
	s_wait_dscnt 0x2
	v_dot4_i32_iu8 v35, v0, v8, v35 neg_lo:[1,1,0]
	v_dot4_i32_iu8 v48, v0, v9, v48 neg_lo:[1,1,0]
	;; [unrolled: 1-line block ×16, first 2 shown]
	s_wait_dscnt 0x1
	v_dot4_i32_iu8 v63, v0, v12, v63 neg_lo:[1,1,0]
	v_dot4_i32_iu8 v64, v0, v13, v64 neg_lo:[1,1,0]
	;; [unrolled: 1-line block ×16, first 2 shown]
	ds_load_b128 v[0:3], v44 offset:3584
	s_wait_dscnt 0x1
	v_dot4_i32_iu8 v67, v4, v8, v67 neg_lo:[1,1,0]
	v_dot4_i32_iu8 v43, v4, v9, v43 neg_lo:[1,1,0]
	;; [unrolled: 1-line block ×15, first 2 shown]
	ds_load_b128 v[16:19], v45 offset:19968
	v_dot4_i32_iu8 v39, v7, v11, v39 neg_lo:[1,1,0]
	v_dot4_i32_iu8 v36, v4, v12, v36 neg_lo:[1,1,0]
	;; [unrolled: 1-line block ×15, first 2 shown]
	ds_load_b128 v[8:11], v45 offset:20224
	v_dot4_i32_iu8 v32, v7, v14, v32 neg_lo:[1,1,0]
	v_dot4_i32_iu8 v33, v7, v15, v33 neg_lo:[1,1,0]
	ds_load_b128 v[4:7], v44 offset:3840
	s_wait_dscnt 0x2
	v_dot4_i32_iu8 v35, v0, v16, v35 neg_lo:[1,1,0]
	v_dot4_i32_iu8 v48, v0, v17, v48 neg_lo:[1,1,0]
	v_dot4_i32_iu8 v49, v0, v18, v49 neg_lo:[1,1,0]
	v_dot4_i32_iu8 v50, v0, v19, v50 neg_lo:[1,1,0]
	v_dot4_i32_iu8 v51, v1, v16, v51 neg_lo:[1,1,0]
	v_dot4_i32_iu8 v52, v1, v17, v52 neg_lo:[1,1,0]
	v_dot4_i32_iu8 v53, v1, v18, v53 neg_lo:[1,1,0]
	v_dot4_i32_iu8 v54, v1, v19, v54 neg_lo:[1,1,0]
	v_dot4_i32_iu8 v55, v2, v16, v55 neg_lo:[1,1,0]
	v_dot4_i32_iu8 v56, v2, v17, v56 neg_lo:[1,1,0]
	v_dot4_i32_iu8 v57, v2, v18, v57 neg_lo:[1,1,0]
	v_dot4_i32_iu8 v58, v2, v19, v58 neg_lo:[1,1,0]
	v_dot4_i32_iu8 v59, v3, v16, v59 neg_lo:[1,1,0]
	v_dot4_i32_iu8 v60, v3, v17, v60 neg_lo:[1,1,0]
	v_dot4_i32_iu8 v61, v3, v18, v61 neg_lo:[1,1,0]
	v_dot4_i32_iu8 v62, v3, v19, v62 neg_lo:[1,1,0]
	s_wait_dscnt 0x1
	v_dot4_i32_iu8 v63, v0, v8, v63 neg_lo:[1,1,0]
	v_dot4_i32_iu8 v64, v0, v9, v64 neg_lo:[1,1,0]
	;; [unrolled: 1-line block ×16, first 2 shown]
	ds_load_b128 v[0:3], v44 offset:4096
	s_wait_dscnt 0x1
	v_dot4_i32_iu8 v67, v4, v16, v67 neg_lo:[1,1,0]
	v_dot4_i32_iu8 v43, v4, v17, v43 neg_lo:[1,1,0]
	v_dot4_i32_iu8 v42, v4, v18, v42 neg_lo:[1,1,0]
	v_dot4_i32_iu8 v41, v4, v19, v41 neg_lo:[1,1,0]
	v_dot4_i32_iu8 v84, v5, v16, v84 neg_lo:[1,1,0]
	v_dot4_i32_iu8 v85, v5, v17, v85 neg_lo:[1,1,0]
	v_dot4_i32_iu8 v86, v5, v18, v86 neg_lo:[1,1,0]
	v_dot4_i32_iu8 v87, v5, v19, v87 neg_lo:[1,1,0]
	v_dot4_i32_iu8 v31, v6, v16, v31 neg_lo:[1,1,0]
	v_dot4_i32_iu8 v29, v6, v17, v29 neg_lo:[1,1,0]
	v_dot4_i32_iu8 v27, v6, v18, v27 neg_lo:[1,1,0]
	v_dot4_i32_iu8 v25, v6, v19, v25 neg_lo:[1,1,0]
	v_dot4_i32_iu8 v23, v7, v16, v23 neg_lo:[1,1,0]
	v_dot4_i32_iu8 v37, v7, v17, v37 neg_lo:[1,1,0]
	v_dot4_i32_iu8 v38, v7, v18, v38 neg_lo:[1,1,0]
	ds_load_b128 v[12:15], v45 offset:20480
	v_dot4_i32_iu8 v39, v7, v19, v39 neg_lo:[1,1,0]
	v_dot4_i32_iu8 v36, v4, v8, v36 neg_lo:[1,1,0]
	;; [unrolled: 1-line block ×15, first 2 shown]
	ds_load_b128 v[16:19], v45 offset:20736
	v_dot4_i32_iu8 v32, v7, v10, v32 neg_lo:[1,1,0]
	v_dot4_i32_iu8 v33, v7, v11, v33 neg_lo:[1,1,0]
	ds_load_b128 v[4:7], v44 offset:4352
	s_wait_dscnt 0x2
	v_dot4_i32_iu8 v35, v0, v12, v35 neg_lo:[1,1,0]
	v_dot4_i32_iu8 v48, v0, v13, v48 neg_lo:[1,1,0]
	;; [unrolled: 1-line block ×16, first 2 shown]
	s_wait_dscnt 0x1
	v_dot4_i32_iu8 v63, v0, v16, v63 neg_lo:[1,1,0]
	v_dot4_i32_iu8 v64, v0, v17, v64 neg_lo:[1,1,0]
	v_dot4_i32_iu8 v65, v0, v18, v65 neg_lo:[1,1,0]
	v_dot4_i32_iu8 v66, v0, v19, v66 neg_lo:[1,1,0]
	v_dot4_i32_iu8 v80, v1, v16, v80 neg_lo:[1,1,0]
	v_dot4_i32_iu8 v81, v1, v17, v81 neg_lo:[1,1,0]
	v_dot4_i32_iu8 v82, v1, v18, v82 neg_lo:[1,1,0]
	v_dot4_i32_iu8 v83, v1, v19, v83 neg_lo:[1,1,0]
	v_dot4_i32_iu8 v79, v2, v16, v79 neg_lo:[1,1,0]
	v_dot4_i32_iu8 v76, v2, v17, v76 neg_lo:[1,1,0]
	v_dot4_i32_iu8 v74, v2, v18, v74 neg_lo:[1,1,0]
	v_dot4_i32_iu8 v73, v2, v19, v73 neg_lo:[1,1,0]
	v_dot4_i32_iu8 v72, v3, v16, v72 neg_lo:[1,1,0]
	v_dot4_i32_iu8 v71, v3, v17, v71 neg_lo:[1,1,0]
	v_dot4_i32_iu8 v70, v3, v18, v70 neg_lo:[1,1,0]
	v_dot4_i32_iu8 v68, v3, v19, v68 neg_lo:[1,1,0]
	ds_load_b128 v[0:3], v44 offset:4608
	s_wait_dscnt 0x1
	v_dot4_i32_iu8 v67, v4, v12, v67 neg_lo:[1,1,0]
	v_dot4_i32_iu8 v43, v4, v13, v43 neg_lo:[1,1,0]
	;; [unrolled: 1-line block ×15, first 2 shown]
	ds_load_b128 v[8:11], v45 offset:20992
	v_dot4_i32_iu8 v39, v7, v15, v39 neg_lo:[1,1,0]
	v_dot4_i32_iu8 v36, v4, v16, v36 neg_lo:[1,1,0]
	;; [unrolled: 1-line block ×15, first 2 shown]
	ds_load_b128 v[12:15], v45 offset:21248
	v_dot4_i32_iu8 v32, v7, v18, v32 neg_lo:[1,1,0]
	v_dot4_i32_iu8 v33, v7, v19, v33 neg_lo:[1,1,0]
	ds_load_b128 v[4:7], v44 offset:4864
	s_wait_dscnt 0x2
	v_dot4_i32_iu8 v35, v0, v8, v35 neg_lo:[1,1,0]
	v_dot4_i32_iu8 v48, v0, v9, v48 neg_lo:[1,1,0]
	;; [unrolled: 1-line block ×16, first 2 shown]
	s_wait_dscnt 0x1
	v_dot4_i32_iu8 v63, v0, v12, v63 neg_lo:[1,1,0]
	v_dot4_i32_iu8 v64, v0, v13, v64 neg_lo:[1,1,0]
	v_dot4_i32_iu8 v65, v0, v14, v65 neg_lo:[1,1,0]
	v_dot4_i32_iu8 v66, v0, v15, v66 neg_lo:[1,1,0]
	v_dot4_i32_iu8 v80, v1, v12, v80 neg_lo:[1,1,0]
	v_dot4_i32_iu8 v81, v1, v13, v81 neg_lo:[1,1,0]
	v_dot4_i32_iu8 v82, v1, v14, v82 neg_lo:[1,1,0]
	v_dot4_i32_iu8 v83, v1, v15, v83 neg_lo:[1,1,0]
	v_dot4_i32_iu8 v79, v2, v12, v79 neg_lo:[1,1,0]
	v_dot4_i32_iu8 v76, v2, v13, v76 neg_lo:[1,1,0]
	v_dot4_i32_iu8 v74, v2, v14, v74 neg_lo:[1,1,0]
	v_dot4_i32_iu8 v73, v2, v15, v73 neg_lo:[1,1,0]
	v_dot4_i32_iu8 v72, v3, v12, v72 neg_lo:[1,1,0]
	v_dot4_i32_iu8 v71, v3, v13, v71 neg_lo:[1,1,0]
	v_dot4_i32_iu8 v70, v3, v14, v70 neg_lo:[1,1,0]
	v_dot4_i32_iu8 v68, v3, v15, v68 neg_lo:[1,1,0]
	ds_load_b128 v[0:3], v44 offset:5120
	s_wait_dscnt 0x1
	v_dot4_i32_iu8 v67, v4, v8, v67 neg_lo:[1,1,0]
	v_dot4_i32_iu8 v43, v4, v9, v43 neg_lo:[1,1,0]
	;; [unrolled: 1-line block ×15, first 2 shown]
	ds_load_b128 v[16:19], v45 offset:21504
	v_dot4_i32_iu8 v39, v7, v11, v39 neg_lo:[1,1,0]
	v_dot4_i32_iu8 v36, v4, v12, v36 neg_lo:[1,1,0]
	;; [unrolled: 1-line block ×15, first 2 shown]
	ds_load_b128 v[8:11], v45 offset:21760
	v_dot4_i32_iu8 v32, v7, v14, v32 neg_lo:[1,1,0]
	v_dot4_i32_iu8 v33, v7, v15, v33 neg_lo:[1,1,0]
	ds_load_b128 v[4:7], v44 offset:5376
	ds_load_b128 v[12:15], v45 offset:22016
	s_wait_kmcnt 0x0
	s_add_nc_u64 s[20:21], s[0:1], s[4:5]
	s_lshl_b32 s0, s45, 6
	s_wait_alu 0xfffe
	s_and_b32 s21, s21, 0xffff
	s_add_co_i32 s1, s0, s44
	s_delay_alu instid0(SALU_CYCLE_1)
	s_sub_co_i32 s1, s1, s2
	s_mul_i32 s2, s44, 60
	s_wait_dscnt 0x2
	v_dot4_i32_iu8 v63, v0, v8, v63 neg_lo:[1,1,0]
	v_dot4_i32_iu8 v64, v0, v9, v64 neg_lo:[1,1,0]
	;; [unrolled: 1-line block ×16, first 2 shown]
	s_wait_dscnt 0x1
	v_dot4_i32_iu8 v36, v4, v8, v36 neg_lo:[1,1,0]
	v_dot4_i32_iu8 v30, v4, v9, v30 neg_lo:[1,1,0]
	v_dot4_i32_iu8 v28, v4, v10, v28 neg_lo:[1,1,0]
	v_dot4_i32_iu8 v26, v4, v11, v26 neg_lo:[1,1,0]
	v_dot4_i32_iu8 v24, v5, v8, v24 neg_lo:[1,1,0]
	v_dot4_i32_iu8 v22, v5, v9, v22 neg_lo:[1,1,0]
	v_dot4_i32_iu8 v88, v5, v10, v21 neg_lo:[1,1,0]
	v_dot4_i32_iu8 v89, v5, v11, v20 neg_lo:[1,1,0]
	v_dot4_i32_iu8 v40, v6, v8, v40 neg_lo:[1,1,0]
	v_dot4_i32_iu8 v75, v6, v9, v75 neg_lo:[1,1,0]
	v_dot4_i32_iu8 v77, v6, v10, v77 neg_lo:[1,1,0]
	v_dot4_i32_iu8 v78, v6, v11, v78 neg_lo:[1,1,0]
	v_dot4_i32_iu8 v34, v7, v8, v34 neg_lo:[1,1,0]
	v_dot4_i32_iu8 v69, v7, v9, v69 neg_lo:[1,1,0]
	v_dot4_i32_iu8 v32, v7, v10, v32 neg_lo:[1,1,0]
	v_dot4_i32_iu8 v33, v7, v11, v33 neg_lo:[1,1,0]
	ds_load_b128 v[8:11], v44 offset:6144
	v_dot4_i32_iu8 v35, v0, v16, v35 neg_lo:[1,1,0]
	v_dot4_i32_iu8 v48, v0, v17, v48 neg_lo:[1,1,0]
	v_dot4_i32_iu8 v49, v0, v18, v49 neg_lo:[1,1,0]
	v_dot4_i32_iu8 v50, v0, v19, v50 neg_lo:[1,1,0]
	v_dot4_i32_iu8 v51, v1, v16, v51 neg_lo:[1,1,0]
	v_dot4_i32_iu8 v52, v1, v17, v52 neg_lo:[1,1,0]
	v_dot4_i32_iu8 v53, v1, v18, v53 neg_lo:[1,1,0]
	v_dot4_i32_iu8 v54, v1, v19, v54 neg_lo:[1,1,0]
	v_dot4_i32_iu8 v55, v2, v16, v55 neg_lo:[1,1,0]
	v_dot4_i32_iu8 v56, v2, v17, v56 neg_lo:[1,1,0]
	v_dot4_i32_iu8 v57, v2, v18, v57 neg_lo:[1,1,0]
	v_dot4_i32_iu8 v58, v2, v19, v58 neg_lo:[1,1,0]
	v_dot4_i32_iu8 v59, v3, v16, v59 neg_lo:[1,1,0]
	v_dot4_i32_iu8 v60, v3, v17, v60 neg_lo:[1,1,0]
	v_dot4_i32_iu8 v61, v3, v18, v61 neg_lo:[1,1,0]
	v_dot4_i32_iu8 v62, v3, v19, v62 neg_lo:[1,1,0]
	ds_load_b128 v[0:3], v44 offset:5632
	;; [unrolled: 17-line block ×3, first 2 shown]
	ds_load_b128 v[4:7], v44 offset:5888
	s_wait_dscnt 0x2
	v_dot4_i32_iu8 v35, v0, v12, v35 neg_lo:[1,1,0]
	v_dot4_i32_iu8 v48, v0, v13, v48 neg_lo:[1,1,0]
	;; [unrolled: 1-line block ×16, first 2 shown]
	s_wait_dscnt 0x1
	v_dot4_i32_iu8 v63, v0, v16, v63 neg_lo:[1,1,0]
	v_dot4_i32_iu8 v64, v0, v17, v64 neg_lo:[1,1,0]
	;; [unrolled: 1-line block ×4, first 2 shown]
	v_lshl_or_b32 v0, s43, 7, v47
	v_dot4_i32_iu8 v79, v2, v16, v79 neg_lo:[1,1,0]
	v_dot4_i32_iu8 v76, v2, v17, v76 neg_lo:[1,1,0]
	v_dot4_i32_iu8 v74, v2, v18, v74 neg_lo:[1,1,0]
	v_dot4_i32_iu8 v73, v2, v19, v73 neg_lo:[1,1,0]
	v_mul_lo_u32 v2, v0, s44
	v_dot4_i32_iu8 v80, v1, v16, v80 neg_lo:[1,1,0]
	v_dot4_i32_iu8 v81, v1, v17, v81 neg_lo:[1,1,0]
	;; [unrolled: 1-line block ×4, first 2 shown]
	v_lshl_add_u32 v1, s41, 7, v46
	s_wait_dscnt 0x0
	v_dot4_i32_iu8 v47, v4, v12, v67 neg_lo:[1,1,0]
	v_dot4_i32_iu8 v43, v4, v13, v43 neg_lo:[1,1,0]
	;; [unrolled: 1-line block ×4, first 2 shown]
	v_mad_co_u64_u32 v[20:21], null, v1, s45, v[2:3]
	v_dot4_i32_iu8 v36, v4, v16, v36 neg_lo:[1,1,0]
	v_dot4_i32_iu8 v30, v4, v17, v30 neg_lo:[1,1,0]
	;; [unrolled: 1-line block ×6, first 2 shown]
	buffer_load_b32 v2, v20, s[20:23], null offen
	v_add_nc_u32_e32 v4, s0, v20
	v_dot4_i32_iu8 v70, v3, v18, v70 neg_lo:[1,1,0]
	v_dot4_i32_iu8 v68, v3, v19, v68 neg_lo:[1,1,0]
	;; [unrolled: 1-line block ×4, first 2 shown]
	buffer_load_b32 v3, v4, s[20:23], null offen
	v_dot4_i32_iu8 v84, v5, v14, v86 neg_lo:[1,1,0]
	v_dot4_i32_iu8 v85, v5, v15, v87 neg_lo:[1,1,0]
	;; [unrolled: 1-line block ×6, first 2 shown]
	v_add_nc_u32_e32 v5, s1, v4
	v_dot4_i32_iu8 v31, v6, v12, v31 neg_lo:[1,1,0]
	v_dot4_i32_iu8 v29, v6, v13, v29 neg_lo:[1,1,0]
	;; [unrolled: 1-line block ×8, first 2 shown]
	ds_load_b128 v[12:15], v45 offset:22528
	v_dot4_i32_iu8 v40, v6, v16, v40 neg_lo:[1,1,0]
	v_dot4_i32_iu8 v75, v6, v17, v75 neg_lo:[1,1,0]
	;; [unrolled: 1-line block ×8, first 2 shown]
	ds_load_b128 v[16:19], v45 offset:22784
	ds_load_b128 v[20:23], v44 offset:6400
	buffer_load_b32 v4, v5, s[20:23], null offen
	v_add_nc_u32_e32 v6, s0, v5
	v_cmp_gt_i32_e32 vcc_lo, s39, v1
	buffer_load_b32 v5, v6, s[20:23], null offen
	s_wait_dscnt 0x2
	v_dot4_i32_iu8 v33, v8, v12, v35 neg_lo:[1,1,0]
	v_dot4_i32_iu8 v35, v8, v13, v48 neg_lo:[1,1,0]
	;; [unrolled: 1-line block ×16, first 2 shown]
	s_wait_dscnt 0x1
	v_dot4_i32_iu8 v62, v8, v16, v63 neg_lo:[1,1,0]
	v_dot4_i32_iu8 v63, v8, v17, v64 neg_lo:[1,1,0]
	;; [unrolled: 1-line block ×8, first 2 shown]
	s_wait_dscnt 0x0
	v_dot4_i32_iu8 v83, v21, v14, v84 neg_lo:[1,1,0]
	v_dot4_i32_iu8 v84, v21, v15, v85 neg_lo:[1,1,0]
	v_add_nc_u32_e32 v85, s1, v6
	v_dot4_i32_iu8 v90, v23, v19, v7 neg_lo:[1,1,0]
	v_dot4_i32_iu8 v79, v10, v16, v79 neg_lo:[1,1,0]
	;; [unrolled: 1-line block ×4, first 2 shown]
	buffer_load_b32 v6, v85, s[20:23], null offen
	v_add_nc_u32_e32 v85, s0, v85
	v_dot4_i32_iu8 v73, v10, v19, v73 neg_lo:[1,1,0]
	v_dot4_i32_iu8 v72, v11, v16, v72 neg_lo:[1,1,0]
	;; [unrolled: 1-line block ×4, first 2 shown]
	buffer_load_b32 v7, v85, s[20:23], null offen
	v_add_nc_u32_e32 v85, s1, v85
	v_dot4_i32_iu8 v68, v11, v19, v68 neg_lo:[1,1,0]
	ds_load_b128 v[8:11], v44 offset:6656
	v_dot4_i32_iu8 v47, v20, v12, v47 neg_lo:[1,1,0]
	v_dot4_i32_iu8 v43, v20, v13, v43 neg_lo:[1,1,0]
	buffer_load_b32 v91, v85, s[20:23], null offen
	v_add_nc_u32_e32 v85, s0, v85
	v_dot4_i32_iu8 v42, v20, v14, v42 neg_lo:[1,1,0]
	v_dot4_i32_iu8 v41, v20, v15, v41 neg_lo:[1,1,0]
	;; [unrolled: 1-line block ×4, first 2 shown]
	buffer_load_b32 v92, v85, s[20:23], null offen
	v_add3_u32 v85, s1, s2, v85
	v_dot4_i32_iu8 v31, v22, v12, v31 neg_lo:[1,1,0]
	v_dot4_i32_iu8 v29, v22, v13, v29 neg_lo:[1,1,0]
	;; [unrolled: 1-line block ×4, first 2 shown]
	buffer_load_b32 v93, v85, s[20:23], null offen
	v_dot4_i32_iu8 v86, v23, v12, v86 neg_lo:[1,1,0]
	v_dot4_i32_iu8 v37, v23, v13, v37 neg_lo:[1,1,0]
	;; [unrolled: 1-line block ×4, first 2 shown]
	ds_load_b128 v[12:15], v45 offset:23040
	v_dot4_i32_iu8 v36, v20, v16, v36 neg_lo:[1,1,0]
	v_dot4_i32_iu8 v30, v20, v17, v30 neg_lo:[1,1,0]
	v_dot4_i32_iu8 v28, v20, v18, v28 neg_lo:[1,1,0]
	v_dot4_i32_iu8 v26, v20, v19, v26 neg_lo:[1,1,0]
	v_dot4_i32_iu8 v24, v21, v16, v24 neg_lo:[1,1,0]
	v_dot4_i32_iu8 v87, v21, v17, v87 neg_lo:[1,1,0]
	v_dot4_i32_iu8 v88, v21, v18, v88 neg_lo:[1,1,0]
	v_dot4_i32_iu8 v89, v21, v19, v89 neg_lo:[1,1,0]
	v_dot4_i32_iu8 v40, v22, v16, v40 neg_lo:[1,1,0]
	v_dot4_i32_iu8 v75, v22, v17, v75 neg_lo:[1,1,0]
	v_dot4_i32_iu8 v77, v22, v18, v77 neg_lo:[1,1,0]
	v_dot4_i32_iu8 v78, v22, v19, v78 neg_lo:[1,1,0]
	v_dot4_i32_iu8 v34, v23, v16, v34 neg_lo:[1,1,0]
	v_dot4_i32_iu8 v69, v23, v17, v69 neg_lo:[1,1,0]
	v_dot4_i32_iu8 v32, v23, v18, v32 neg_lo:[1,1,0]
	ds_load_b128 v[16:19], v45 offset:23296
	ds_load_b128 v[20:23], v44 offset:6912
	v_add_nc_u32_e32 v85, s0, v85
	s_wait_dscnt 0x2
	v_dot4_i32_iu8 v33, v8, v12, v33 neg_lo:[1,1,0]
	v_dot4_i32_iu8 v35, v8, v13, v35 neg_lo:[1,1,0]
	;; [unrolled: 1-line block ×16, first 2 shown]
	s_wait_dscnt 0x1
	v_dot4_i32_iu8 v62, v8, v16, v62 neg_lo:[1,1,0]
	v_dot4_i32_iu8 v63, v8, v17, v63 neg_lo:[1,1,0]
	v_dot4_i32_iu8 v64, v8, v18, v64 neg_lo:[1,1,0]
	v_dot4_i32_iu8 v65, v8, v19, v65 neg_lo:[1,1,0]
	v_dot4_i32_iu8 v66, v9, v16, v66 neg_lo:[1,1,0]
	v_dot4_i32_iu8 v80, v9, v17, v80 neg_lo:[1,1,0]
	v_dot4_i32_iu8 v81, v9, v18, v81 neg_lo:[1,1,0]
	v_dot4_i32_iu8 v82, v9, v19, v82 neg_lo:[1,1,0]
	v_dot4_i32_iu8 v79, v10, v16, v79 neg_lo:[1,1,0]
	v_dot4_i32_iu8 v76, v10, v17, v76 neg_lo:[1,1,0]
	v_dot4_i32_iu8 v74, v10, v18, v74 neg_lo:[1,1,0]
	v_dot4_i32_iu8 v73, v10, v19, v73 neg_lo:[1,1,0]
	v_dot4_i32_iu8 v72, v11, v16, v72 neg_lo:[1,1,0]
	v_dot4_i32_iu8 v71, v11, v17, v71 neg_lo:[1,1,0]
	v_dot4_i32_iu8 v70, v11, v18, v70 neg_lo:[1,1,0]
	v_dot4_i32_iu8 v68, v11, v19, v68 neg_lo:[1,1,0]
	ds_load_b128 v[8:11], v44 offset:7168
	s_wait_dscnt 0x1
	v_dot4_i32_iu8 v47, v20, v12, v47 neg_lo:[1,1,0]
	v_dot4_i32_iu8 v43, v20, v13, v43 neg_lo:[1,1,0]
	;; [unrolled: 1-line block ×16, first 2 shown]
	ds_load_b128 v[12:15], v45 offset:23552
	v_dot4_i32_iu8 v36, v20, v16, v36 neg_lo:[1,1,0]
	v_dot4_i32_iu8 v30, v20, v17, v30 neg_lo:[1,1,0]
	;; [unrolled: 1-line block ×16, first 2 shown]
	ds_load_b128 v[16:19], v45 offset:23808
	ds_load_b128 v[20:23], v44 offset:7424
	buffer_load_b32 v94, v85, s[20:23], null offen
	v_add_nc_u32_e32 v85, s1, v85
	s_wait_dscnt 0x2
	v_dot4_i32_iu8 v33, v8, v12, v33 neg_lo:[1,1,0]
	v_dot4_i32_iu8 v35, v8, v13, v35 neg_lo:[1,1,0]
	;; [unrolled: 1-line block ×4, first 2 shown]
	buffer_load_b32 v95, v85, s[20:23], null offen
	v_add_nc_u32_e32 v85, s0, v85
	v_dot4_i32_iu8 v50, v9, v12, v50 neg_lo:[1,1,0]
	v_dot4_i32_iu8 v51, v9, v13, v51 neg_lo:[1,1,0]
	;; [unrolled: 1-line block ×4, first 2 shown]
	buffer_load_b32 v96, v85, s[20:23], null offen
	v_add_nc_u32_e32 v85, s1, v85
	v_dot4_i32_iu8 v54, v10, v12, v54 neg_lo:[1,1,0]
	v_dot4_i32_iu8 v55, v10, v13, v55 neg_lo:[1,1,0]
	;; [unrolled: 1-line block ×8, first 2 shown]
	s_wait_dscnt 0x1
	v_dot4_i32_iu8 v62, v8, v16, v62 neg_lo:[1,1,0]
	v_dot4_i32_iu8 v63, v8, v17, v63 neg_lo:[1,1,0]
	;; [unrolled: 1-line block ×16, first 2 shown]
	ds_load_b128 v[8:11], v44 offset:7680
	s_wait_dscnt 0x1
	v_dot4_i32_iu8 v47, v20, v12, v47 neg_lo:[1,1,0]
	v_dot4_i32_iu8 v43, v20, v13, v43 neg_lo:[1,1,0]
	;; [unrolled: 1-line block ×16, first 2 shown]
	ds_load_b128 v[12:15], v45 offset:24064
	buffer_load_b32 v97, v85, s[20:23], null offen
	v_dot4_i32_iu8 v36, v20, v16, v36 neg_lo:[1,1,0]
	v_dot4_i32_iu8 v30, v20, v17, v30 neg_lo:[1,1,0]
	;; [unrolled: 1-line block ×16, first 2 shown]
	ds_load_b128 v[16:19], v45 offset:24320
	ds_load_b128 v[20:23], v44 offset:7936
	v_add_nc_u32_e32 v45, s0, v85
	s_wait_dscnt 0x2
	v_dot4_i32_iu8 v44, v8, v14, v48 neg_lo:[1,1,0]
	v_dot4_i32_iu8 v48, v8, v15, v49 neg_lo:[1,1,0]
	;; [unrolled: 1-line block ×5, first 2 shown]
	buffer_load_b32 v52, v45, s[20:23], null offen
	v_add_nc_u32_e32 v45, s1, v45
	v_dot4_i32_iu8 v33, v8, v12, v33 neg_lo:[1,1,0]
	v_dot4_i32_iu8 v35, v8, v13, v35 neg_lo:[1,1,0]
	v_cmp_gt_i32_e64 s1, s15, v0
	v_dot4_i32_iu8 v53, v9, v15, v53 neg_lo:[1,1,0]
	v_dot4_i32_iu8 v54, v10, v12, v54 neg_lo:[1,1,0]
	;; [unrolled: 1-line block ×7, first 2 shown]
	s_wait_dscnt 0x1
	v_dot4_i32_iu8 v62, v8, v16, v62 neg_lo:[1,1,0]
	v_dot4_i32_iu8 v63, v8, v17, v63 neg_lo:[1,1,0]
	;; [unrolled: 1-line block ×7, first 2 shown]
	buffer_load_b32 v81, v45, s[20:23], null offen
	v_add_nc_u32_e32 v45, s0, v45
	s_and_b32 s0, s1, vcc_lo
	v_dot4_i32_iu8 v79, v10, v16, v79 neg_lo:[1,1,0]
	v_dot4_i32_iu8 v76, v10, v17, v76 neg_lo:[1,1,0]
	;; [unrolled: 1-line block ×3, first 2 shown]
	buffer_load_b32 v45, v45, s[20:23], null offen
	v_dot4_i32_iu8 v10, v10, v19, v73 neg_lo:[1,1,0]
	s_wait_dscnt 0x0
	v_dot4_i32_iu8 v41, v20, v15, v41 neg_lo:[1,1,0]
	v_dot4_i32_iu8 v73, v21, v15, v84 neg_lo:[1,1,0]
	;; [unrolled: 1-line block ×24, first 2 shown]
	s_wait_loadcnt 0xf
	v_cndmask_b32_e64 v2, 0, v2, s0
	v_add_nc_u32_e32 v32, 64, v1
	v_dot4_i32_iu8 v36, v20, v16, v36 neg_lo:[1,1,0]
	v_dot4_i32_iu8 v24, v21, v16, v24 neg_lo:[1,1,0]
	;; [unrolled: 1-line block ×3, first 2 shown]
	v_lshrrev_b32_e32 v75, 8, v2
	v_add_nc_u16 v33, v2, v33
	v_cmp_gt_i32_e64 s0, s39, v32
	v_dot4_i32_iu8 v9, v9, v19, v82 neg_lo:[1,1,0]
	v_dot4_i32_iu8 v47, v20, v12, v47 neg_lo:[1,1,0]
	v_add_nc_u16 v34, v75, v35
	v_dot4_i32_iu8 v67, v21, v12, v67 neg_lo:[1,1,0]
	v_dot4_i32_iu8 v31, v22, v12, v31 neg_lo:[1,1,0]
	;; [unrolled: 1-line block ×10, first 2 shown]
	v_bfe_i32 v23, v33, 0, 8
	v_bfe_i32 v33, v34, 0, 8
	v_lshrrev_b32_e32 v34, 16, v2
	v_lshrrev_b32_e32 v2, 24, v2
	s_and_b32 s1, s1, s0
	v_max_i16 v23, v23, 0
	s_wait_loadcnt 0xe
	s_wait_alu 0xfffe
	v_cndmask_b32_e64 v3, 0, v3, s1
	v_add_nc_u16 v34, v34, v44
	v_add_nc_u16 v2, v2, v48
	v_or_b32_e32 v44, 1, v0
	v_max_i16 v33, v33, 0
	v_lshrrev_b32_e32 v48, 8, v3
	v_add_nc_u16 v35, v3, v62
	v_bfe_i32 v2, v2, 0, 8
	v_cmp_gt_i32_e64 s1, s15, v44
	v_bfe_i32 v34, v34, 0, 8
	v_and_b32_e32 v23, 0xffff, v23
	v_bfe_i32 v35, v35, 0, 8
	v_max_i16 v62, v2, 0
	v_add_nc_u16 v2, v48, v63
	s_and_b32 s2, s1, vcc_lo
	v_lshrrev_b32_e32 v48, 16, v3
	s_wait_loadcnt 0xd
	s_wait_alu 0xfffe
	v_cndmask_b32_e64 v4, 0, v4, s2
	v_lshrrev_b32_e32 v3, 24, v3
	v_bfe_i32 v2, v2, 0, 8
	s_and_b32 s1, s1, s0
	v_add_nc_u16 v48, v48, v64
	v_lshrrev_b32_e32 v63, 8, v4
	v_add_nc_u16 v3, v3, v8
	v_max_i16 v2, v2, 0
	s_wait_loadcnt 0xc
	s_wait_alu 0xfffe
	v_cndmask_b32_e64 v5, 0, v5, s1
	v_bfe_i32 v8, v48, 0, 8
	v_add_nc_u16 v48, v4, v49
	v_add_nc_u16 v49, v63, v50
	v_and_b32_e32 v50, 0xffff, v2
	v_bfe_i32 v2, v3, 0, 8
	v_max_i16 v3, v8, 0
	v_bfe_i32 v8, v48, 0, 8
	v_bfe_i32 v48, v49, 0, 8
	v_lshrrev_b32_e32 v49, 16, v4
	v_max_i16 v63, v2, 0
	v_lshrrev_b32_e32 v2, 24, v4
	v_max_i16 v4, v8, 0
	v_max_i16 v8, v48, 0
	v_add_nc_u16 v48, v49, v51
	v_or_b32_e32 v51, 2, v0
	v_add_nc_u16 v2, v2, v53
	v_lshrrev_b32_e32 v53, 8, v5
	v_add_nc_u16 v49, v5, v65
	v_and_b32_e32 v33, 0xffff, v33
	v_cmp_gt_i32_e64 s1, s15, v51
	v_bfe_i32 v2, v2, 0, 8
	v_max_i16 v34, v34, 0
	v_max_i16 v35, v35, 0
	v_bfe_i32 v49, v49, 0, 8
	s_and_b32 s2, s1, vcc_lo
	v_max_i16 v64, v2, 0
	v_add_nc_u16 v2, v53, v66
	v_lshrrev_b32_e32 v53, 16, v5
	s_wait_loadcnt 0xb
	s_wait_alu 0xfffe
	v_cndmask_b32_e64 v6, 0, v6, s2
	v_lshrrev_b32_e32 v5, 24, v5
	s_and_b32 s1, s1, s0
	v_bfe_i32 v2, v2, 0, 8
	v_add_nc_u16 v53, v53, v80
	v_lshrrev_b32_e32 v65, 8, v6
	v_add_nc_u16 v5, v5, v9
	s_wait_loadcnt 0xa
	s_wait_alu 0xfffe
	v_cndmask_b32_e64 v7, 0, v7, s1
	v_max_i16 v2, v2, 0
	v_bfe_i32 v9, v53, 0, 8
	v_add_nc_u16 v53, v6, v54
	v_add_nc_u16 v54, v65, v55
	v_and_b32_e32 v35, 0xffff, v35
	v_and_b32_e32 v55, 0xffff, v2
	v_bfe_i32 v2, v5, 0, 8
	v_max_i16 v5, v9, 0
	v_bfe_i32 v9, v53, 0, 8
	v_bfe_i32 v53, v54, 0, 8
	v_lshrrev_b32_e32 v54, 16, v6
	v_max_i16 v65, v2, 0
	v_lshrrev_b32_e32 v2, 24, v6
	v_max_i16 v6, v9, 0
	v_max_i16 v9, v53, 0
	v_add_nc_u16 v53, v54, v56
	v_or_b32_e32 v56, 3, v0
	v_add_nc_u16 v2, v2, v57
	v_lshrrev_b32_e32 v57, 8, v7
	v_add_nc_u16 v54, v7, v79
	v_max_i16 v49, v49, 0
	v_cmp_gt_i32_e64 s1, s15, v56
	v_bfe_i32 v2, v2, 0, 8
	v_bfe_i32 v48, v48, 0, 8
	;; [unrolled: 1-line block ×3, first 2 shown]
	v_and_b32_e32 v49, 0xffff, v49
	s_and_b32 s2, s1, vcc_lo
	v_max_i16 v66, v2, 0
	v_add_nc_u16 v2, v57, v76
	v_lshrrev_b32_e32 v57, 16, v7
	s_wait_loadcnt 0x9
	s_wait_alu 0xfffe
	v_cndmask_b32_e64 v69, 0, v91, s2
	v_lshrrev_b32_e32 v7, 24, v7
	s_and_b32 s1, s1, s0
	v_bfe_i32 v2, v2, 0, 8
	v_add_nc_u16 v57, v57, v74
	v_lshrrev_b32_e32 v74, 8, v69
	v_add_nc_u16 v7, v7, v10
	v_bfe_i32 v54, v54, 0, 8
	v_max_i16 v2, v2, 0
	v_bfe_i32 v10, v57, 0, 8
	v_add_nc_u16 v57, v69, v58
	v_add_nc_u16 v58, v74, v59
	v_and_b32_e32 v4, 0xffff, v4
	v_and_b32_e32 v59, 0xffff, v2
	v_bfe_i32 v2, v7, 0, 8
	v_max_i16 v7, v10, 0
	v_bfe_i32 v10, v57, 0, 8
	v_bfe_i32 v57, v58, 0, 8
	v_lshrrev_b32_e32 v58, 16, v69
	v_max_i16 v74, v2, 0
	v_lshrrev_b32_e32 v2, 24, v69
	v_or_b32_e32 v69, 64, v0
	v_and_b32_e32 v8, 0xffff, v8
	v_add_nc_u16 v58, v58, v60
	s_wait_loadcnt 0x8
	s_wait_alu 0xfffe
	v_cndmask_b32_e64 v60, 0, v92, s1
	v_add_nc_u16 v2, v2, v61
	v_cmp_gt_i32_e64 s1, s15, v69
	v_max_i16 v48, v48, 0
	v_and_b32_e32 v6, 0xffff, v6
	v_add_nc_u16 v61, v60, v72
	v_bfe_i32 v2, v2, 0, 8
	v_lshrrev_b32_e32 v72, 8, v60
	s_and_b32 s2, s1, vcc_lo
	s_and_b32 s1, s1, s0
	v_and_b32_e32 v9, 0xffff, v9
	v_max_i16 v75, v2, 0
	v_add_nc_u16 v2, v72, v71
	v_lshrrev_b32_e32 v71, 16, v60
	s_wait_loadcnt 0x7
	s_wait_alu 0xfffe
	v_cndmask_b32_e64 v72, 0, v93, s2
	v_lshrrev_b32_e32 v60, 24, v60
	v_max_i16 v53, v53, 0
	v_bfe_i32 v2, v2, 0, 8
	v_add_nc_u16 v70, v71, v70
	v_lshrrev_b32_e32 v71, 8, v72
	v_add_nc_u16 v11, v60, v11
	v_add_nc_u16 v47, v72, v47
	v_max_i16 v2, v2, 0
	v_bfe_i32 v60, v70, 0, 8
	v_add_nc_u16 v43, v71, v43
	v_lshlrev_b32_e32 v5, 16, v5
	v_max_i16 v54, v54, 0
	v_and_b32_e32 v70, 0xffff, v2
	v_bfe_i32 v2, v11, 0, 8
	v_bfe_i32 v43, v43, 0, 8
	v_max_i16 v11, v60, 0
	v_lshrrev_b32_e32 v60, 16, v72
	v_bfe_i32 v61, v61, 0, 8
	v_max_i16 v71, v2, 0
	v_lshrrev_b32_e32 v2, 24, v72
	v_max_i16 v43, v43, 0
	v_add_nc_u16 v42, v60, v42
	v_lshl_or_b32 v4, v8, 8, v4
	v_lshlrev_b32_e32 v8, 16, v48
	v_add_nc_u16 v2, v2, v41
	v_and_b32_e32 v41, 0xffff, v43
	v_add_nc_u32_e32 v43, 0x41, v0
	v_lshl_or_b32 v6, v9, 8, v6
	v_lshlrev_b32_e32 v9, 16, v53
	v_bfe_i32 v2, v2, 0, 8
	v_and_b32_e32 v54, 0xffff, v54
	v_max_i16 v61, v61, 0
	s_wait_loadcnt 0x6
	v_cndmask_b32_e64 v60, 0, v94, s1
	v_cmp_gt_i32_e64 s1, s15, v43
	v_max_i16 v76, v2, 0
	v_max_i16 v10, v10, 0
	;; [unrolled: 1-line block ×3, first 2 shown]
	v_add_nc_u16 v36, v60, v36
	v_lshrrev_b32_e32 v72, 8, v60
	s_and_b32 s2, s1, vcc_lo
	s_and_b32 s1, s1, s0
	v_bfe_i32 v58, v58, 0, 8
	v_bfe_i32 v36, v36, 0, 8
	v_add_nc_u16 v2, v72, v30
	v_lshrrev_b32_e32 v30, 16, v60
	s_wait_loadcnt 0x5
	s_wait_alu 0xfffe
	v_cndmask_b32_e64 v72, 0, v95, s2
	v_lshrrev_b32_e32 v60, 24, v60
	v_max_i16 v36, v36, 0
	v_bfe_i32 v2, v2, 0, 8
	v_add_nc_u16 v28, v30, v28
	v_and_b32_e32 v61, 0xffff, v61
	v_add_nc_u16 v20, v60, v20
	v_and_b32_e32 v30, 0xffff, v36
	v_lshrrev_b32_e32 v36, 8, v72
	v_max_i16 v2, v2, 0
	v_bfe_i32 v28, v28, 0, 8
	v_add_nc_u16 v60, v72, v67
	v_lshlrev_b32_e32 v7, 16, v7
	v_add_nc_u16 v36, v36, v46
	v_and_b32_e32 v46, 0xffff, v2
	v_bfe_i32 v2, v20, 0, 8
	v_max_i16 v20, v28, 0
	v_bfe_i32 v28, v60, 0, 8
	v_lshrrev_b32_e32 v60, 16, v72
	v_and_b32_e32 v10, 0xffff, v10
	v_max_i16 v67, v2, 0
	v_lshrrev_b32_e32 v2, 24, v72
	v_add_nc_u32_e32 v72, 0x42, v0
	v_add_nc_u16 v60, v60, v68
	s_wait_loadcnt 0x4
	v_cndmask_b32_e64 v68, 0, v96, s1
	v_and_b32_e32 v57, 0xffff, v57
	v_add_nc_u16 v2, v2, v73
	v_cmp_gt_i32_e64 s1, s15, v72
	v_max_i16 v58, v58, 0
	v_lshrrev_b32_e32 v73, 8, v68
	v_add_nc_u16 v24, v68, v24
	v_bfe_i32 v2, v2, 0, 8
	s_and_b32 s2, s1, vcc_lo
	s_and_b32 s1, s1, s0
	v_lshl_or_b32 v10, v57, 8, v10
	v_bfe_i32 v36, v36, 0, 8
	v_max_i16 v77, v2, 0
	v_add_nc_u16 v2, v73, v26
	v_lshrrev_b32_e32 v26, 16, v68
	v_max_i16 v28, v28, 0
	v_max_i16 v36, v36, 0
	v_bfe_i32 v60, v60, 0, 8
	v_bfe_i32 v2, v2, 0, 8
	s_wait_loadcnt 0x3
	s_wait_alu 0xfffe
	v_cndmask_b32_e64 v73, 0, v97, s2
	v_add_nc_u16 v26, v26, v37
	v_lshrrev_b32_e32 v37, 24, v68
	v_and_b32_e32 v28, 0xffff, v28
	v_max_i16 v2, v2, 0
	v_lshrrev_b32_e32 v68, 8, v73
	v_add_nc_u16 v31, v73, v31
	v_add_nc_u16 v21, v37, v21
	v_and_b32_e32 v36, 0xffff, v36
	v_and_b32_e32 v37, 0xffff, v2
	v_add_nc_u16 v29, v68, v29
	v_lshrrev_b32_e32 v68, 24, v73
	v_bfe_i32 v2, v21, 0, 8
	v_bfe_i32 v21, v31, 0, 8
	v_lshrrev_b32_e32 v31, 16, v73
	v_bfe_i32 v29, v29, 0, 8
	v_add_nc_u16 v25, v68, v25
	v_max_i16 v73, v2, 0
	v_max_i16 v2, v21, 0
	v_add_nc_u16 v27, v31, v27
	v_max_i16 v21, v29, 0
	v_add_nc_u32_e32 v68, 0x43, v0
	v_max_i16 v60, v60, 0
	v_and_b32_e32 v31, 0xffff, v2
	s_wait_loadcnt 0x2
	v_cndmask_b32_e64 v29, 0, v52, s1
	v_bfe_i32 v2, v27, 0, 8
	v_cmp_gt_i32_e64 s1, s15, v68
	s_mov_b32 s15, s23
	v_bfe_i32 v24, v24, 0, 8
	v_add_nc_u16 v27, v29, v38
	v_lshrrev_b32_e32 v38, 8, v29
	v_max_i16 v52, v2, 0
	s_and_b32 vcc_lo, s1, vcc_lo
	v_bfe_i32 v25, v25, 0, 8
	v_bfe_i32 v2, v27, 0, 8
	v_add_nc_u16 v27, v38, v39
	v_lshrrev_b32_e32 v38, 16, v29
	v_lshrrev_b32_e32 v29, 24, v29
	v_max_i16 v24, v24, 0
	v_max_i16 v2, v2, 0
	v_bfe_i32 v27, v27, 0, 8
	v_add_nc_u16 v38, v38, v40
	v_add_nc_u16 v22, v29, v22
	s_wait_loadcnt 0x1
	v_cndmask_b32_e32 v29, 0, v81, vcc_lo
	v_and_b32_e32 v39, 0xffff, v2
	v_max_i16 v2, v27, 0
	v_bfe_i32 v27, v38, 0, 8
	s_and_b32 vcc_lo, s1, s0
	v_lshrrev_b32_e32 v38, 8, v29
	v_add_nc_u16 v12, v29, v12
	v_and_b32_e32 v40, 0xffff, v2
	v_cmp_gt_i32_e64 s0, s33, v0
	v_bfe_i32 v22, v22, 0, 8
	v_add_nc_u16 v2, v38, v13
	v_lshrrev_b32_e32 v13, 16, v29
	s_wait_loadcnt 0x0
	s_wait_alu 0xfffe
	v_cndmask_b32_e32 v38, 0, v45, vcc_lo
	v_cmp_gt_i32_e32 vcc_lo, s36, v1
	v_bfe_i32 v12, v12, 0, 8
	v_bfe_i32 v2, v2, 0, 8
	v_add_nc_u16 v13, v13, v14
	v_lshrrev_b32_e32 v14, 24, v29
	v_lshrrev_b32_e32 v29, 8, v38
	v_add_nc_u16 v16, v38, v16
	v_max_i16 v2, v2, 0
	s_and_b32 s1, s0, vcc_lo
	v_max_i16 v12, v12, 0
	v_add_nc_u16 v17, v29, v17
	v_bfe_i32 v13, v13, 0, 8
	v_and_b32_e32 v29, 0xffff, v2
	v_add_nc_u16 v2, v14, v15
	v_bfe_i32 v14, v16, 0, 8
	v_bfe_i32 v15, v17, 0, 8
	v_lshrrev_b32_e32 v17, 24, v38
	v_lshrrev_b32_e32 v16, 16, v38
	v_bfe_i32 v2, v2, 0, 8
	v_and_b32_e32 v12, 0xffff, v12
	v_max_i16 v13, v13, 0
	v_add_nc_u16 v17, v17, v19
	v_add_nc_u16 v16, v16, v18
	v_max_i16 v18, v2, 0
	v_mul_lo_u32 v2, v0, s34
	v_lshl_or_b32 v19, v33, 8, v23
	v_bfe_i32 v17, v17, 0, 8
	v_bfe_i32 v16, v16, 0, 8
	v_lshlrev_b32_e32 v23, 16, v34
	v_lshlrev_b32_e32 v33, 24, v62
	v_max_i16 v14, v14, 0
	v_max_i16 v15, v15, 0
	v_mad_co_u64_u32 v[0:1], null, v1, s35, v[2:3]
	v_max_i16 v2, v17, 0
	s_wait_alu 0xfffe
	v_cndmask_b32_e64 v17, 0x80000000, 0, s1
	v_cmp_gt_i32_e64 s1, s36, v32
	v_max_i16 v1, v16, 0
	v_or3_b32 v16, v19, v23, v33
	v_lshl_or_b32 v23, v50, 8, v35
	v_add_nc_u32_e32 v19, s3, v0
	s_and_b32 s0, s0, s1
	v_lshlrev_b32_e32 v3, 16, v3
	v_lshlrev_b32_e32 v32, 24, v63
	s_wait_alu 0xfffe
	v_cndmask_b32_e64 v33, 0x80000000, 0, s0
	v_cmp_gt_i32_e64 s0, s33, v44
	v_add_nc_u32_e32 v17, v17, v0
	v_add_nc_u32_e32 v0, s34, v0
	v_or3_b32 v3, v23, v3, v32
	v_add_nc_u32_e32 v23, v33, v19
	s_and_b32 s2, s0, s1
	s_clause 0x1
	buffer_store_b32 v16, v17, s[12:15], null offen
	buffer_store_b32 v3, v23, s[12:15], null offen
	v_cndmask_b32_e64 v16, 0x80000000, 0, s2
	v_cmp_gt_i32_e64 s2, s33, v51
	v_lshl_or_b32 v32, v55, 8, v49
	v_lshlrev_b32_e32 v33, 24, v65
	s_and_b32 s0, s0, vcc_lo
	v_add_nc_u32_e32 v3, s34, v19
	s_wait_alu 0xfffe
	v_cndmask_b32_e64 v19, 0x80000000, 0, s0
	s_and_b32 s0, s2, vcc_lo
	v_lshlrev_b32_e32 v17, 24, v64
	v_or3_b32 v5, v32, v5, v33
	v_lshlrev_b32_e32 v23, 24, v66
	s_wait_alu 0xfffe
	v_cndmask_b32_e64 v32, 0x80000000, 0, s0
	v_add_nc_u32_e32 v16, v16, v3
	v_add_nc_u32_e32 v3, s34, v3
	s_and_b32 s0, s2, s1
	v_or3_b32 v4, v4, v8, v17
	v_add_nc_u32_e32 v8, v0, v19
	v_or3_b32 v6, v6, v9, v23
	v_add3_u32 v0, v32, s34, v0
	s_wait_alu 0xfffe
	v_cndmask_b32_e64 v19, 0x80000000, 0, s0
	v_cmp_gt_i32_e64 s0, s33, v56
	v_lshl_or_b32 v9, v59, 8, v54
	v_lshlrev_b32_e32 v17, 24, v74
	s_clause 0x2
	buffer_store_b32 v5, v16, s[12:15], null offen
	buffer_store_b32 v4, v8, s[12:15], null offen
	;; [unrolled: 1-line block ×3, first 2 shown]
	v_add_nc_u32_e32 v5, s34, v3
	s_and_b32 s2, s0, s1
	s_and_b32 s0, s0, vcc_lo
	v_or3_b32 v0, v9, v7, v17
	v_add_nc_u32_e32 v4, v3, v19
	v_lshl_or_b32 v6, v70, 8, v61
	v_lshlrev_b32_e32 v7, 16, v11
	v_lshlrev_b32_e32 v8, 24, v71
	s_wait_alu 0xfffe
	v_cndmask_b32_e64 v9, 0x80000000, 0, s2
	v_subrev_nc_u32_e32 v11, s3, v5
	v_lshlrev_b32_e32 v16, 16, v58
	v_lshlrev_b32_e32 v17, 24, v75
	v_cndmask_b32_e64 v19, 0x80000000, 0, s0
	v_cmp_gt_i32_e64 s0, s33, v68
	buffer_store_b32 v0, v4, s[12:15], null offen
	v_or3_b32 v0, v6, v7, v8
	v_add_nc_u32_e32 v4, v5, v9
	v_or3_b32 v6, v10, v16, v17
	v_add_nc_u32_e32 v7, v11, v19
	s_and_b32 s4, s0, vcc_lo
	s_and_b32 s0, s0, s1
	s_clause 0x1
	buffer_store_b32 v0, v4, s[12:15], null offen
	buffer_store_b32 v6, v7, s[12:15], null offen
	v_cndmask_b32_e64 v7, 0x80000000, 0, s0
	v_cmp_ge_i32_e64 s0, s33, v68
	v_max_i16 v27, v27, 0
	v_max_i16 v22, v22, 0
	v_and_b32_e32 v14, 0xffff, v14
	v_and_b32_e32 v15, 0xffff, v15
	v_lshl_or_b32 v8, v29, 8, v12
	v_lshlrev_b32_e32 v9, 16, v13
	v_lshlrev_b32_e32 v10, 24, v18
	s_and_b32 s0, s0, s1
	v_lshl_or_b32 v6, v15, 8, v14
	s_wait_alu 0xfffe
	v_cndmask_b32_e64 v12, 0x80000000, 0, s0
	v_cmp_gt_i32_e64 s0, s33, v72
	v_or3_b32 v0, v8, v9, v10
	v_lshlrev_b32_e32 v1, 16, v1
	v_lshlrev_b32_e32 v2, 24, v2
	v_lshl_or_b32 v8, v40, 8, v39
	v_lshlrev_b32_e32 v9, 16, v27
	v_lshlrev_b32_e32 v10, 24, v22
	s_lshl_b32 s2, s34, 6
	v_cndmask_b32_e64 v4, 0x80000000, 0, s4
	s_and_b32 s0, s0, vcc_lo
	s_wait_alu 0xfffe
	v_add_nc_u32_e32 v3, s2, v3
	v_or3_b32 v1, v6, v1, v2
	v_add3_u32 v2, v5, s2, v7
	v_or3_b32 v5, v8, v9, v10
	v_cndmask_b32_e64 v10, 0x80000000, 0, s0
	v_cmp_ge_i32_e64 s0, s33, v72
	v_add3_u32 v4, v4, s2, v11
	v_add_nc_u32_e32 v6, v3, v12
	v_subrev_nc_u32_e32 v3, s3, v3
	s_clause 0x2
	buffer_store_b32 v0, v4, s[12:15], null offen
	buffer_store_b32 v1, v2, s[12:15], null offen
	;; [unrolled: 1-line block ×3, first 2 shown]
	s_and_b32 s0, s0, vcc_lo
	v_add_nc_u32_e32 v1, v3, v10
	s_wait_alu 0xfffe
	v_cndmask_b32_e64 v6, 0x80000000, 0, s0
	v_cmp_gt_i32_e64 s0, s33, v43
	v_subrev_nc_u32_e32 v2, s34, v3
	v_lshl_or_b32 v3, v36, 8, v28
	v_lshlrev_b32_e32 v4, 16, v60
	v_lshlrev_b32_e32 v5, 24, v77
	v_bfe_i32 v26, v26, 0, 8
	v_and_b32_e32 v21, 0xffff, v21
	v_max_i16 v25, v25, 0
	v_bfe_i32 v47, v47, 0, 8
	s_and_b32 s0, s0, s1
	v_or3_b32 v3, v3, v4, v5
	v_add_nc_u32_e32 v4, s3, v2
	v_add_nc_u32_e32 v2, v2, v6
	s_wait_alu 0xfffe
	v_cndmask_b32_e64 v6, 0x80000000, 0, s0
	v_cmp_gt_i32_e64 s0, s33, v69
	v_and_b32_e32 v24, 0xffff, v24
	v_max_i16 v26, v26, 0
	v_lshl_or_b32 v7, v21, 8, v31
	v_lshlrev_b32_e32 v8, 16, v52
	v_lshlrev_b32_e32 v9, 24, v25
	v_max_i16 v47, v47, 0
	v_bfe_i32 v42, v42, 0, 8
	v_cmp_ge_i32_e64 s2, s33, v43
	s_and_b32 s0, s0, vcc_lo
	v_or3_b32 v0, v7, v8, v9
	v_lshl_or_b32 v7, v37, 8, v24
	v_lshlrev_b32_e32 v8, 16, v26
	v_lshlrev_b32_e32 v9, 24, v73
	v_and_b32_e32 v47, 0xffff, v47
	v_max_i16 v42, v42, 0
	s_wait_alu 0xfffe
	v_cndmask_b32_e64 v11, 0x80000000, 0, s0
	s_and_b32 s0, s2, s1
	v_or3_b32 v5, v7, v8, v9
	v_subrev_nc_u32_e32 v7, s34, v4
	v_lshl_or_b32 v8, v46, 8, v30
	v_lshlrev_b32_e32 v9, 16, v20
	v_lshlrev_b32_e32 v10, 24, v67
	s_wait_alu 0xfffe
	v_cndmask_b32_e64 v12, 0x80000000, 0, s0
	v_lshl_or_b32 v13, v41, 8, v47
	v_lshlrev_b32_e32 v14, 16, v42
	v_lshlrev_b32_e32 v15, 24, v76
	v_subrev_nc_u32_e32 v11, s3, v11
	v_add_nc_u32_e32 v4, v4, v6
	v_or3_b32 v6, v8, v9, v10
	v_add_nc_u32_e32 v8, v7, v12
	v_or3_b32 v9, v13, v14, v15
	v_add_nc_u32_e32 v7, v11, v7
	s_clause 0x4
	buffer_store_b32 v0, v1, s[12:15], null offen
	buffer_store_b32 v3, v2, s[12:15], null offen
	;; [unrolled: 1-line block ×5, first 2 shown]
	s_nop 0
	s_sendmsg sendmsg(MSG_DEALLOC_VGPRS)
	s_endpgm
	.section	.rodata,"a",@progbits
	.p2align	6, 0x0
	.amdhsa_kernel _ZN2ck16tensor_operation6device12_GLOBAL__N_137kernel_grouped_conv_fwd_dl_multiple_dINS_32GridwiseGemmDlMultipleD_km_kn_mnILi256EaiNS_5TupleIJaEEEaNS0_12element_wise11PassThroughES8_NS7_7AddReluELNS_25InMemoryDataOperationEnumE0ENS_16TensorDescriptorINS5_IJNS_5EmbedINS5_IJiiiEEESD_Lb0EEENS_11PassThroughIiEENS_3PadIiiiLb0EEESG_SG_NSC_INS5_IJiiEEESJ_Lb0EEESG_NS_23Merge_v2_magic_divisionISJ_EESM_NS_8RightPadIiiLb0EEESO_NS_7UnMergeISJ_Lb0EEESG_EEENS5_IJNS_8SequenceIJLi0EEEENSS_IJLi1EEEENSS_IJLi2EEEENSS_IJLi3EEEENSS_IJLi4EEEENSS_IJLi5EEEENSS_IJLi6EEEENSS_IJLi7ELi9EEEENSS_IJLi8ELi10EEEENSS_IJLi11EEEENSS_IJLi12EEEENSS_IJLi14EEEENSS_IJLi13EEEEEEENS5_IJNSS_IJLi1ELi2ELi3EEEESX_SY_SZ_NSS_IJLi7EEEENSS_IJLi8ELi9EEEENSS_IJLi10EEEES12_S13_S15_S14_NSS_IJLi15ELi16EEEENSS_IJLi17EEEEEEENSS_IJLi15ELi17ELi16EEEElEENSB_INS5_IJSQ_SO_SO_SQ_SG_EEENS5_IJST_SU_SV_SX_SW_EEENS5_IJNSS_IJLi1ELi2EEEESW_SX_NSS_IJLi5ELi6EEEES18_EEENSS_IJLi5ELi7ELi6EEEElEENSB_INS5_IJSK_SO_SO_EEENS5_IJST_SU_SV_EEENS5_IJS1I_SW_SX_EEENSS_IJLi3ELi4EEEElEELi128ELi128ELi16ELi4ELi4ELi4ELi1ENSS_IJLi8ELi2EEEES1S_NSS_IJLi8ELi1ELi1ELi4EEEENSS_IJLi2ELi1ELi128ELi1EEEENSS_IJLi1ELi2ELi0ELi3EEEES1V_NSS_IJLi4ELi1ELi1ELi4EEEES1V_NSS_IJLi1ELi1ELi1ELi4EEEES1T_S1U_S1V_S1V_S1W_S1V_S1X_NSS_IJLi0ELi1ELi2ELi3ELi4ELi5EEEELi5ELi4EEEaNS5_IJPKaEEEaS8_S8_S9_NSB_INS5_IJSE_SG_SI_SG_SG_SK_SG_SM_SM_SO_SO_SQ_SG_SG_NSP_INS5_IJiNS_17integral_constantIiLi128EEEEEELb0EEENSF_INS23_IiLi4EEEEEEEENS5_IJST_SU_SV_SW_SX_SY_SZ_S10_S11_S12_S13_S14_S15_NSS_IJLi15EEEES1C_NSS_IJLi16EEEEEEENS5_IJS17_SX_SY_SZ_S18_S19_S1A_S12_S13_S15_S14_S1B_S1C_NSS_IJLi18EEEENSS_IJLi19ELi20EEEENSS_IJLi21EEEEEEENSS_IJLi18ELi19ELi20ELi21EEEElEENSB_INS5_IJSQ_SO_SO_SQ_SG_SG_S26_S28_EEENS5_IJST_SU_SV_SX_SW_SY_S18_SZ_EEENS5_IJS1I_SW_SX_S1J_S18_NSS_IJLi8EEEENSS_IJLi9ELi10EEEES12_EEENSS_IJLi8ELi9ELi10ELi11EEEElEENS5_IJNSB_INS5_IJSK_SO_SO_NSP_INS5_IJiNS23_IiLi2EEENS23_IiLi64EEEEEELb0EEES2T_EEENS5_IJST_SU_SV_SW_SX_EEENS5_IJS1I_SW_SX_NSS_IJLi5ELi6ELi7EEEENSS_IJLi8ELi9ELi10EEEEEEENSS_IJLi5ELi6ELi7ELi8ELi9ELi10EEEElEEEEES30_NS_31BlockToCTileMap_M00_N00_M01_N01ILi128ELi128ES1R_Lb0EEENS1_30ComputePtrOffsetOfStridedBatchILi1ELi1ELi1EvEELb1ELb0EEEvPKT0_S38_T1_PT2_T3_T4_T5_iT6_T7_T8_T9_T10_T11_
		.amdhsa_group_segment_fixed_size 32768
		.amdhsa_private_segment_fixed_size 0
		.amdhsa_kernarg_size 904
		.amdhsa_user_sgpr_count 2
		.amdhsa_user_sgpr_dispatch_ptr 0
		.amdhsa_user_sgpr_queue_ptr 0
		.amdhsa_user_sgpr_kernarg_segment_ptr 1
		.amdhsa_user_sgpr_dispatch_id 0
		.amdhsa_user_sgpr_private_segment_size 0
		.amdhsa_wavefront_size32 1
		.amdhsa_uses_dynamic_stack 0
		.amdhsa_enable_private_segment 0
		.amdhsa_system_sgpr_workgroup_id_x 1
		.amdhsa_system_sgpr_workgroup_id_y 0
		.amdhsa_system_sgpr_workgroup_id_z 0
		.amdhsa_system_sgpr_workgroup_info 0
		.amdhsa_system_vgpr_workitem_id 0
		.amdhsa_next_free_vgpr 203
		.amdhsa_next_free_sgpr 61
		.amdhsa_reserve_vcc 1
		.amdhsa_float_round_mode_32 0
		.amdhsa_float_round_mode_16_64 0
		.amdhsa_float_denorm_mode_32 3
		.amdhsa_float_denorm_mode_16_64 3
		.amdhsa_fp16_overflow 0
		.amdhsa_workgroup_processor_mode 1
		.amdhsa_memory_ordered 1
		.amdhsa_forward_progress 1
		.amdhsa_inst_pref_size 255
		.amdhsa_round_robin_scheduling 0
		.amdhsa_exception_fp_ieee_invalid_op 0
		.amdhsa_exception_fp_denorm_src 0
		.amdhsa_exception_fp_ieee_div_zero 0
		.amdhsa_exception_fp_ieee_overflow 0
		.amdhsa_exception_fp_ieee_underflow 0
		.amdhsa_exception_fp_ieee_inexact 0
		.amdhsa_exception_int_div_zero 0
	.end_amdhsa_kernel
	.section	.text._ZN2ck16tensor_operation6device12_GLOBAL__N_137kernel_grouped_conv_fwd_dl_multiple_dINS_32GridwiseGemmDlMultipleD_km_kn_mnILi256EaiNS_5TupleIJaEEEaNS0_12element_wise11PassThroughES8_NS7_7AddReluELNS_25InMemoryDataOperationEnumE0ENS_16TensorDescriptorINS5_IJNS_5EmbedINS5_IJiiiEEESD_Lb0EEENS_11PassThroughIiEENS_3PadIiiiLb0EEESG_SG_NSC_INS5_IJiiEEESJ_Lb0EEESG_NS_23Merge_v2_magic_divisionISJ_EESM_NS_8RightPadIiiLb0EEESO_NS_7UnMergeISJ_Lb0EEESG_EEENS5_IJNS_8SequenceIJLi0EEEENSS_IJLi1EEEENSS_IJLi2EEEENSS_IJLi3EEEENSS_IJLi4EEEENSS_IJLi5EEEENSS_IJLi6EEEENSS_IJLi7ELi9EEEENSS_IJLi8ELi10EEEENSS_IJLi11EEEENSS_IJLi12EEEENSS_IJLi14EEEENSS_IJLi13EEEEEEENS5_IJNSS_IJLi1ELi2ELi3EEEESX_SY_SZ_NSS_IJLi7EEEENSS_IJLi8ELi9EEEENSS_IJLi10EEEES12_S13_S15_S14_NSS_IJLi15ELi16EEEENSS_IJLi17EEEEEEENSS_IJLi15ELi17ELi16EEEElEENSB_INS5_IJSQ_SO_SO_SQ_SG_EEENS5_IJST_SU_SV_SX_SW_EEENS5_IJNSS_IJLi1ELi2EEEESW_SX_NSS_IJLi5ELi6EEEES18_EEENSS_IJLi5ELi7ELi6EEEElEENSB_INS5_IJSK_SO_SO_EEENS5_IJST_SU_SV_EEENS5_IJS1I_SW_SX_EEENSS_IJLi3ELi4EEEElEELi128ELi128ELi16ELi4ELi4ELi4ELi1ENSS_IJLi8ELi2EEEES1S_NSS_IJLi8ELi1ELi1ELi4EEEENSS_IJLi2ELi1ELi128ELi1EEEENSS_IJLi1ELi2ELi0ELi3EEEES1V_NSS_IJLi4ELi1ELi1ELi4EEEES1V_NSS_IJLi1ELi1ELi1ELi4EEEES1T_S1U_S1V_S1V_S1W_S1V_S1X_NSS_IJLi0ELi1ELi2ELi3ELi4ELi5EEEELi5ELi4EEEaNS5_IJPKaEEEaS8_S8_S9_NSB_INS5_IJSE_SG_SI_SG_SG_SK_SG_SM_SM_SO_SO_SQ_SG_SG_NSP_INS5_IJiNS_17integral_constantIiLi128EEEEEELb0EEENSF_INS23_IiLi4EEEEEEEENS5_IJST_SU_SV_SW_SX_SY_SZ_S10_S11_S12_S13_S14_S15_NSS_IJLi15EEEES1C_NSS_IJLi16EEEEEEENS5_IJS17_SX_SY_SZ_S18_S19_S1A_S12_S13_S15_S14_S1B_S1C_NSS_IJLi18EEEENSS_IJLi19ELi20EEEENSS_IJLi21EEEEEEENSS_IJLi18ELi19ELi20ELi21EEEElEENSB_INS5_IJSQ_SO_SO_SQ_SG_SG_S26_S28_EEENS5_IJST_SU_SV_SX_SW_SY_S18_SZ_EEENS5_IJS1I_SW_SX_S1J_S18_NSS_IJLi8EEEENSS_IJLi9ELi10EEEES12_EEENSS_IJLi8ELi9ELi10ELi11EEEElEENS5_IJNSB_INS5_IJSK_SO_SO_NSP_INS5_IJiNS23_IiLi2EEENS23_IiLi64EEEEEELb0EEES2T_EEENS5_IJST_SU_SV_SW_SX_EEENS5_IJS1I_SW_SX_NSS_IJLi5ELi6ELi7EEEENSS_IJLi8ELi9ELi10EEEEEEENSS_IJLi5ELi6ELi7ELi8ELi9ELi10EEEElEEEEES30_NS_31BlockToCTileMap_M00_N00_M01_N01ILi128ELi128ES1R_Lb0EEENS1_30ComputePtrOffsetOfStridedBatchILi1ELi1ELi1EvEELb1ELb0EEEvPKT0_S38_T1_PT2_T3_T4_T5_iT6_T7_T8_T9_T10_T11_,"axG",@progbits,_ZN2ck16tensor_operation6device12_GLOBAL__N_137kernel_grouped_conv_fwd_dl_multiple_dINS_32GridwiseGemmDlMultipleD_km_kn_mnILi256EaiNS_5TupleIJaEEEaNS0_12element_wise11PassThroughES8_NS7_7AddReluELNS_25InMemoryDataOperationEnumE0ENS_16TensorDescriptorINS5_IJNS_5EmbedINS5_IJiiiEEESD_Lb0EEENS_11PassThroughIiEENS_3PadIiiiLb0EEESG_SG_NSC_INS5_IJiiEEESJ_Lb0EEESG_NS_23Merge_v2_magic_divisionISJ_EESM_NS_8RightPadIiiLb0EEESO_NS_7UnMergeISJ_Lb0EEESG_EEENS5_IJNS_8SequenceIJLi0EEEENSS_IJLi1EEEENSS_IJLi2EEEENSS_IJLi3EEEENSS_IJLi4EEEENSS_IJLi5EEEENSS_IJLi6EEEENSS_IJLi7ELi9EEEENSS_IJLi8ELi10EEEENSS_IJLi11EEEENSS_IJLi12EEEENSS_IJLi14EEEENSS_IJLi13EEEEEEENS5_IJNSS_IJLi1ELi2ELi3EEEESX_SY_SZ_NSS_IJLi7EEEENSS_IJLi8ELi9EEEENSS_IJLi10EEEES12_S13_S15_S14_NSS_IJLi15ELi16EEEENSS_IJLi17EEEEEEENSS_IJLi15ELi17ELi16EEEElEENSB_INS5_IJSQ_SO_SO_SQ_SG_EEENS5_IJST_SU_SV_SX_SW_EEENS5_IJNSS_IJLi1ELi2EEEESW_SX_NSS_IJLi5ELi6EEEES18_EEENSS_IJLi5ELi7ELi6EEEElEENSB_INS5_IJSK_SO_SO_EEENS5_IJST_SU_SV_EEENS5_IJS1I_SW_SX_EEENSS_IJLi3ELi4EEEElEELi128ELi128ELi16ELi4ELi4ELi4ELi1ENSS_IJLi8ELi2EEEES1S_NSS_IJLi8ELi1ELi1ELi4EEEENSS_IJLi2ELi1ELi128ELi1EEEENSS_IJLi1ELi2ELi0ELi3EEEES1V_NSS_IJLi4ELi1ELi1ELi4EEEES1V_NSS_IJLi1ELi1ELi1ELi4EEEES1T_S1U_S1V_S1V_S1W_S1V_S1X_NSS_IJLi0ELi1ELi2ELi3ELi4ELi5EEEELi5ELi4EEEaNS5_IJPKaEEEaS8_S8_S9_NSB_INS5_IJSE_SG_SI_SG_SG_SK_SG_SM_SM_SO_SO_SQ_SG_SG_NSP_INS5_IJiNS_17integral_constantIiLi128EEEEEELb0EEENSF_INS23_IiLi4EEEEEEEENS5_IJST_SU_SV_SW_SX_SY_SZ_S10_S11_S12_S13_S14_S15_NSS_IJLi15EEEES1C_NSS_IJLi16EEEEEEENS5_IJS17_SX_SY_SZ_S18_S19_S1A_S12_S13_S15_S14_S1B_S1C_NSS_IJLi18EEEENSS_IJLi19ELi20EEEENSS_IJLi21EEEEEEENSS_IJLi18ELi19ELi20ELi21EEEElEENSB_INS5_IJSQ_SO_SO_SQ_SG_SG_S26_S28_EEENS5_IJST_SU_SV_SX_SW_SY_S18_SZ_EEENS5_IJS1I_SW_SX_S1J_S18_NSS_IJLi8EEEENSS_IJLi9ELi10EEEES12_EEENSS_IJLi8ELi9ELi10ELi11EEEElEENS5_IJNSB_INS5_IJSK_SO_SO_NSP_INS5_IJiNS23_IiLi2EEENS23_IiLi64EEEEEELb0EEES2T_EEENS5_IJST_SU_SV_SW_SX_EEENS5_IJS1I_SW_SX_NSS_IJLi5ELi6ELi7EEEENSS_IJLi8ELi9ELi10EEEEEEENSS_IJLi5ELi6ELi7ELi8ELi9ELi10EEEElEEEEES30_NS_31BlockToCTileMap_M00_N00_M01_N01ILi128ELi128ES1R_Lb0EEENS1_30ComputePtrOffsetOfStridedBatchILi1ELi1ELi1EvEELb1ELb0EEEvPKT0_S38_T1_PT2_T3_T4_T5_iT6_T7_T8_T9_T10_T11_,comdat
.Lfunc_end2:
	.size	_ZN2ck16tensor_operation6device12_GLOBAL__N_137kernel_grouped_conv_fwd_dl_multiple_dINS_32GridwiseGemmDlMultipleD_km_kn_mnILi256EaiNS_5TupleIJaEEEaNS0_12element_wise11PassThroughES8_NS7_7AddReluELNS_25InMemoryDataOperationEnumE0ENS_16TensorDescriptorINS5_IJNS_5EmbedINS5_IJiiiEEESD_Lb0EEENS_11PassThroughIiEENS_3PadIiiiLb0EEESG_SG_NSC_INS5_IJiiEEESJ_Lb0EEESG_NS_23Merge_v2_magic_divisionISJ_EESM_NS_8RightPadIiiLb0EEESO_NS_7UnMergeISJ_Lb0EEESG_EEENS5_IJNS_8SequenceIJLi0EEEENSS_IJLi1EEEENSS_IJLi2EEEENSS_IJLi3EEEENSS_IJLi4EEEENSS_IJLi5EEEENSS_IJLi6EEEENSS_IJLi7ELi9EEEENSS_IJLi8ELi10EEEENSS_IJLi11EEEENSS_IJLi12EEEENSS_IJLi14EEEENSS_IJLi13EEEEEEENS5_IJNSS_IJLi1ELi2ELi3EEEESX_SY_SZ_NSS_IJLi7EEEENSS_IJLi8ELi9EEEENSS_IJLi10EEEES12_S13_S15_S14_NSS_IJLi15ELi16EEEENSS_IJLi17EEEEEEENSS_IJLi15ELi17ELi16EEEElEENSB_INS5_IJSQ_SO_SO_SQ_SG_EEENS5_IJST_SU_SV_SX_SW_EEENS5_IJNSS_IJLi1ELi2EEEESW_SX_NSS_IJLi5ELi6EEEES18_EEENSS_IJLi5ELi7ELi6EEEElEENSB_INS5_IJSK_SO_SO_EEENS5_IJST_SU_SV_EEENS5_IJS1I_SW_SX_EEENSS_IJLi3ELi4EEEElEELi128ELi128ELi16ELi4ELi4ELi4ELi1ENSS_IJLi8ELi2EEEES1S_NSS_IJLi8ELi1ELi1ELi4EEEENSS_IJLi2ELi1ELi128ELi1EEEENSS_IJLi1ELi2ELi0ELi3EEEES1V_NSS_IJLi4ELi1ELi1ELi4EEEES1V_NSS_IJLi1ELi1ELi1ELi4EEEES1T_S1U_S1V_S1V_S1W_S1V_S1X_NSS_IJLi0ELi1ELi2ELi3ELi4ELi5EEEELi5ELi4EEEaNS5_IJPKaEEEaS8_S8_S9_NSB_INS5_IJSE_SG_SI_SG_SG_SK_SG_SM_SM_SO_SO_SQ_SG_SG_NSP_INS5_IJiNS_17integral_constantIiLi128EEEEEELb0EEENSF_INS23_IiLi4EEEEEEEENS5_IJST_SU_SV_SW_SX_SY_SZ_S10_S11_S12_S13_S14_S15_NSS_IJLi15EEEES1C_NSS_IJLi16EEEEEEENS5_IJS17_SX_SY_SZ_S18_S19_S1A_S12_S13_S15_S14_S1B_S1C_NSS_IJLi18EEEENSS_IJLi19ELi20EEEENSS_IJLi21EEEEEEENSS_IJLi18ELi19ELi20ELi21EEEElEENSB_INS5_IJSQ_SO_SO_SQ_SG_SG_S26_S28_EEENS5_IJST_SU_SV_SX_SW_SY_S18_SZ_EEENS5_IJS1I_SW_SX_S1J_S18_NSS_IJLi8EEEENSS_IJLi9ELi10EEEES12_EEENSS_IJLi8ELi9ELi10ELi11EEEElEENS5_IJNSB_INS5_IJSK_SO_SO_NSP_INS5_IJiNS23_IiLi2EEENS23_IiLi64EEEEEELb0EEES2T_EEENS5_IJST_SU_SV_SW_SX_EEENS5_IJS1I_SW_SX_NSS_IJLi5ELi6ELi7EEEENSS_IJLi8ELi9ELi10EEEEEEENSS_IJLi5ELi6ELi7ELi8ELi9ELi10EEEElEEEEES30_NS_31BlockToCTileMap_M00_N00_M01_N01ILi128ELi128ES1R_Lb0EEENS1_30ComputePtrOffsetOfStridedBatchILi1ELi1ELi1EvEELb1ELb0EEEvPKT0_S38_T1_PT2_T3_T4_T5_iT6_T7_T8_T9_T10_T11_, .Lfunc_end2-_ZN2ck16tensor_operation6device12_GLOBAL__N_137kernel_grouped_conv_fwd_dl_multiple_dINS_32GridwiseGemmDlMultipleD_km_kn_mnILi256EaiNS_5TupleIJaEEEaNS0_12element_wise11PassThroughES8_NS7_7AddReluELNS_25InMemoryDataOperationEnumE0ENS_16TensorDescriptorINS5_IJNS_5EmbedINS5_IJiiiEEESD_Lb0EEENS_11PassThroughIiEENS_3PadIiiiLb0EEESG_SG_NSC_INS5_IJiiEEESJ_Lb0EEESG_NS_23Merge_v2_magic_divisionISJ_EESM_NS_8RightPadIiiLb0EEESO_NS_7UnMergeISJ_Lb0EEESG_EEENS5_IJNS_8SequenceIJLi0EEEENSS_IJLi1EEEENSS_IJLi2EEEENSS_IJLi3EEEENSS_IJLi4EEEENSS_IJLi5EEEENSS_IJLi6EEEENSS_IJLi7ELi9EEEENSS_IJLi8ELi10EEEENSS_IJLi11EEEENSS_IJLi12EEEENSS_IJLi14EEEENSS_IJLi13EEEEEEENS5_IJNSS_IJLi1ELi2ELi3EEEESX_SY_SZ_NSS_IJLi7EEEENSS_IJLi8ELi9EEEENSS_IJLi10EEEES12_S13_S15_S14_NSS_IJLi15ELi16EEEENSS_IJLi17EEEEEEENSS_IJLi15ELi17ELi16EEEElEENSB_INS5_IJSQ_SO_SO_SQ_SG_EEENS5_IJST_SU_SV_SX_SW_EEENS5_IJNSS_IJLi1ELi2EEEESW_SX_NSS_IJLi5ELi6EEEES18_EEENSS_IJLi5ELi7ELi6EEEElEENSB_INS5_IJSK_SO_SO_EEENS5_IJST_SU_SV_EEENS5_IJS1I_SW_SX_EEENSS_IJLi3ELi4EEEElEELi128ELi128ELi16ELi4ELi4ELi4ELi1ENSS_IJLi8ELi2EEEES1S_NSS_IJLi8ELi1ELi1ELi4EEEENSS_IJLi2ELi1ELi128ELi1EEEENSS_IJLi1ELi2ELi0ELi3EEEES1V_NSS_IJLi4ELi1ELi1ELi4EEEES1V_NSS_IJLi1ELi1ELi1ELi4EEEES1T_S1U_S1V_S1V_S1W_S1V_S1X_NSS_IJLi0ELi1ELi2ELi3ELi4ELi5EEEELi5ELi4EEEaNS5_IJPKaEEEaS8_S8_S9_NSB_INS5_IJSE_SG_SI_SG_SG_SK_SG_SM_SM_SO_SO_SQ_SG_SG_NSP_INS5_IJiNS_17integral_constantIiLi128EEEEEELb0EEENSF_INS23_IiLi4EEEEEEEENS5_IJST_SU_SV_SW_SX_SY_SZ_S10_S11_S12_S13_S14_S15_NSS_IJLi15EEEES1C_NSS_IJLi16EEEEEEENS5_IJS17_SX_SY_SZ_S18_S19_S1A_S12_S13_S15_S14_S1B_S1C_NSS_IJLi18EEEENSS_IJLi19ELi20EEEENSS_IJLi21EEEEEEENSS_IJLi18ELi19ELi20ELi21EEEElEENSB_INS5_IJSQ_SO_SO_SQ_SG_SG_S26_S28_EEENS5_IJST_SU_SV_SX_SW_SY_S18_SZ_EEENS5_IJS1I_SW_SX_S1J_S18_NSS_IJLi8EEEENSS_IJLi9ELi10EEEES12_EEENSS_IJLi8ELi9ELi10ELi11EEEElEENS5_IJNSB_INS5_IJSK_SO_SO_NSP_INS5_IJiNS23_IiLi2EEENS23_IiLi64EEEEEELb0EEES2T_EEENS5_IJST_SU_SV_SW_SX_EEENS5_IJS1I_SW_SX_NSS_IJLi5ELi6ELi7EEEENSS_IJLi8ELi9ELi10EEEEEEENSS_IJLi5ELi6ELi7ELi8ELi9ELi10EEEElEEEEES30_NS_31BlockToCTileMap_M00_N00_M01_N01ILi128ELi128ES1R_Lb0EEENS1_30ComputePtrOffsetOfStridedBatchILi1ELi1ELi1EvEELb1ELb0EEEvPKT0_S38_T1_PT2_T3_T4_T5_iT6_T7_T8_T9_T10_T11_
                                        ; -- End function
	.set _ZN2ck16tensor_operation6device12_GLOBAL__N_137kernel_grouped_conv_fwd_dl_multiple_dINS_32GridwiseGemmDlMultipleD_km_kn_mnILi256EaiNS_5TupleIJaEEEaNS0_12element_wise11PassThroughES8_NS7_7AddReluELNS_25InMemoryDataOperationEnumE0ENS_16TensorDescriptorINS5_IJNS_5EmbedINS5_IJiiiEEESD_Lb0EEENS_11PassThroughIiEENS_3PadIiiiLb0EEESG_SG_NSC_INS5_IJiiEEESJ_Lb0EEESG_NS_23Merge_v2_magic_divisionISJ_EESM_NS_8RightPadIiiLb0EEESO_NS_7UnMergeISJ_Lb0EEESG_EEENS5_IJNS_8SequenceIJLi0EEEENSS_IJLi1EEEENSS_IJLi2EEEENSS_IJLi3EEEENSS_IJLi4EEEENSS_IJLi5EEEENSS_IJLi6EEEENSS_IJLi7ELi9EEEENSS_IJLi8ELi10EEEENSS_IJLi11EEEENSS_IJLi12EEEENSS_IJLi14EEEENSS_IJLi13EEEEEEENS5_IJNSS_IJLi1ELi2ELi3EEEESX_SY_SZ_NSS_IJLi7EEEENSS_IJLi8ELi9EEEENSS_IJLi10EEEES12_S13_S15_S14_NSS_IJLi15ELi16EEEENSS_IJLi17EEEEEEENSS_IJLi15ELi17ELi16EEEElEENSB_INS5_IJSQ_SO_SO_SQ_SG_EEENS5_IJST_SU_SV_SX_SW_EEENS5_IJNSS_IJLi1ELi2EEEESW_SX_NSS_IJLi5ELi6EEEES18_EEENSS_IJLi5ELi7ELi6EEEElEENSB_INS5_IJSK_SO_SO_EEENS5_IJST_SU_SV_EEENS5_IJS1I_SW_SX_EEENSS_IJLi3ELi4EEEElEELi128ELi128ELi16ELi4ELi4ELi4ELi1ENSS_IJLi8ELi2EEEES1S_NSS_IJLi8ELi1ELi1ELi4EEEENSS_IJLi2ELi1ELi128ELi1EEEENSS_IJLi1ELi2ELi0ELi3EEEES1V_NSS_IJLi4ELi1ELi1ELi4EEEES1V_NSS_IJLi1ELi1ELi1ELi4EEEES1T_S1U_S1V_S1V_S1W_S1V_S1X_NSS_IJLi0ELi1ELi2ELi3ELi4ELi5EEEELi5ELi4EEEaNS5_IJPKaEEEaS8_S8_S9_NSB_INS5_IJSE_SG_SI_SG_SG_SK_SG_SM_SM_SO_SO_SQ_SG_SG_NSP_INS5_IJiNS_17integral_constantIiLi128EEEEEELb0EEENSF_INS23_IiLi4EEEEEEEENS5_IJST_SU_SV_SW_SX_SY_SZ_S10_S11_S12_S13_S14_S15_NSS_IJLi15EEEES1C_NSS_IJLi16EEEEEEENS5_IJS17_SX_SY_SZ_S18_S19_S1A_S12_S13_S15_S14_S1B_S1C_NSS_IJLi18EEEENSS_IJLi19ELi20EEEENSS_IJLi21EEEEEEENSS_IJLi18ELi19ELi20ELi21EEEElEENSB_INS5_IJSQ_SO_SO_SQ_SG_SG_S26_S28_EEENS5_IJST_SU_SV_SX_SW_SY_S18_SZ_EEENS5_IJS1I_SW_SX_S1J_S18_NSS_IJLi8EEEENSS_IJLi9ELi10EEEES12_EEENSS_IJLi8ELi9ELi10ELi11EEEElEENS5_IJNSB_INS5_IJSK_SO_SO_NSP_INS5_IJiNS23_IiLi2EEENS23_IiLi64EEEEEELb0EEES2T_EEENS5_IJST_SU_SV_SW_SX_EEENS5_IJS1I_SW_SX_NSS_IJLi5ELi6ELi7EEEENSS_IJLi8ELi9ELi10EEEEEEENSS_IJLi5ELi6ELi7ELi8ELi9ELi10EEEElEEEEES30_NS_31BlockToCTileMap_M00_N00_M01_N01ILi128ELi128ES1R_Lb0EEENS1_30ComputePtrOffsetOfStridedBatchILi1ELi1ELi1EvEELb1ELb0EEEvPKT0_S38_T1_PT2_T3_T4_T5_iT6_T7_T8_T9_T10_T11_.num_vgpr, 203
	.set _ZN2ck16tensor_operation6device12_GLOBAL__N_137kernel_grouped_conv_fwd_dl_multiple_dINS_32GridwiseGemmDlMultipleD_km_kn_mnILi256EaiNS_5TupleIJaEEEaNS0_12element_wise11PassThroughES8_NS7_7AddReluELNS_25InMemoryDataOperationEnumE0ENS_16TensorDescriptorINS5_IJNS_5EmbedINS5_IJiiiEEESD_Lb0EEENS_11PassThroughIiEENS_3PadIiiiLb0EEESG_SG_NSC_INS5_IJiiEEESJ_Lb0EEESG_NS_23Merge_v2_magic_divisionISJ_EESM_NS_8RightPadIiiLb0EEESO_NS_7UnMergeISJ_Lb0EEESG_EEENS5_IJNS_8SequenceIJLi0EEEENSS_IJLi1EEEENSS_IJLi2EEEENSS_IJLi3EEEENSS_IJLi4EEEENSS_IJLi5EEEENSS_IJLi6EEEENSS_IJLi7ELi9EEEENSS_IJLi8ELi10EEEENSS_IJLi11EEEENSS_IJLi12EEEENSS_IJLi14EEEENSS_IJLi13EEEEEEENS5_IJNSS_IJLi1ELi2ELi3EEEESX_SY_SZ_NSS_IJLi7EEEENSS_IJLi8ELi9EEEENSS_IJLi10EEEES12_S13_S15_S14_NSS_IJLi15ELi16EEEENSS_IJLi17EEEEEEENSS_IJLi15ELi17ELi16EEEElEENSB_INS5_IJSQ_SO_SO_SQ_SG_EEENS5_IJST_SU_SV_SX_SW_EEENS5_IJNSS_IJLi1ELi2EEEESW_SX_NSS_IJLi5ELi6EEEES18_EEENSS_IJLi5ELi7ELi6EEEElEENSB_INS5_IJSK_SO_SO_EEENS5_IJST_SU_SV_EEENS5_IJS1I_SW_SX_EEENSS_IJLi3ELi4EEEElEELi128ELi128ELi16ELi4ELi4ELi4ELi1ENSS_IJLi8ELi2EEEES1S_NSS_IJLi8ELi1ELi1ELi4EEEENSS_IJLi2ELi1ELi128ELi1EEEENSS_IJLi1ELi2ELi0ELi3EEEES1V_NSS_IJLi4ELi1ELi1ELi4EEEES1V_NSS_IJLi1ELi1ELi1ELi4EEEES1T_S1U_S1V_S1V_S1W_S1V_S1X_NSS_IJLi0ELi1ELi2ELi3ELi4ELi5EEEELi5ELi4EEEaNS5_IJPKaEEEaS8_S8_S9_NSB_INS5_IJSE_SG_SI_SG_SG_SK_SG_SM_SM_SO_SO_SQ_SG_SG_NSP_INS5_IJiNS_17integral_constantIiLi128EEEEEELb0EEENSF_INS23_IiLi4EEEEEEEENS5_IJST_SU_SV_SW_SX_SY_SZ_S10_S11_S12_S13_S14_S15_NSS_IJLi15EEEES1C_NSS_IJLi16EEEEEEENS5_IJS17_SX_SY_SZ_S18_S19_S1A_S12_S13_S15_S14_S1B_S1C_NSS_IJLi18EEEENSS_IJLi19ELi20EEEENSS_IJLi21EEEEEEENSS_IJLi18ELi19ELi20ELi21EEEElEENSB_INS5_IJSQ_SO_SO_SQ_SG_SG_S26_S28_EEENS5_IJST_SU_SV_SX_SW_SY_S18_SZ_EEENS5_IJS1I_SW_SX_S1J_S18_NSS_IJLi8EEEENSS_IJLi9ELi10EEEES12_EEENSS_IJLi8ELi9ELi10ELi11EEEElEENS5_IJNSB_INS5_IJSK_SO_SO_NSP_INS5_IJiNS23_IiLi2EEENS23_IiLi64EEEEEELb0EEES2T_EEENS5_IJST_SU_SV_SW_SX_EEENS5_IJS1I_SW_SX_NSS_IJLi5ELi6ELi7EEEENSS_IJLi8ELi9ELi10EEEEEEENSS_IJLi5ELi6ELi7ELi8ELi9ELi10EEEElEEEEES30_NS_31BlockToCTileMap_M00_N00_M01_N01ILi128ELi128ES1R_Lb0EEENS1_30ComputePtrOffsetOfStridedBatchILi1ELi1ELi1EvEELb1ELb0EEEvPKT0_S38_T1_PT2_T3_T4_T5_iT6_T7_T8_T9_T10_T11_.num_agpr, 0
	.set _ZN2ck16tensor_operation6device12_GLOBAL__N_137kernel_grouped_conv_fwd_dl_multiple_dINS_32GridwiseGemmDlMultipleD_km_kn_mnILi256EaiNS_5TupleIJaEEEaNS0_12element_wise11PassThroughES8_NS7_7AddReluELNS_25InMemoryDataOperationEnumE0ENS_16TensorDescriptorINS5_IJNS_5EmbedINS5_IJiiiEEESD_Lb0EEENS_11PassThroughIiEENS_3PadIiiiLb0EEESG_SG_NSC_INS5_IJiiEEESJ_Lb0EEESG_NS_23Merge_v2_magic_divisionISJ_EESM_NS_8RightPadIiiLb0EEESO_NS_7UnMergeISJ_Lb0EEESG_EEENS5_IJNS_8SequenceIJLi0EEEENSS_IJLi1EEEENSS_IJLi2EEEENSS_IJLi3EEEENSS_IJLi4EEEENSS_IJLi5EEEENSS_IJLi6EEEENSS_IJLi7ELi9EEEENSS_IJLi8ELi10EEEENSS_IJLi11EEEENSS_IJLi12EEEENSS_IJLi14EEEENSS_IJLi13EEEEEEENS5_IJNSS_IJLi1ELi2ELi3EEEESX_SY_SZ_NSS_IJLi7EEEENSS_IJLi8ELi9EEEENSS_IJLi10EEEES12_S13_S15_S14_NSS_IJLi15ELi16EEEENSS_IJLi17EEEEEEENSS_IJLi15ELi17ELi16EEEElEENSB_INS5_IJSQ_SO_SO_SQ_SG_EEENS5_IJST_SU_SV_SX_SW_EEENS5_IJNSS_IJLi1ELi2EEEESW_SX_NSS_IJLi5ELi6EEEES18_EEENSS_IJLi5ELi7ELi6EEEElEENSB_INS5_IJSK_SO_SO_EEENS5_IJST_SU_SV_EEENS5_IJS1I_SW_SX_EEENSS_IJLi3ELi4EEEElEELi128ELi128ELi16ELi4ELi4ELi4ELi1ENSS_IJLi8ELi2EEEES1S_NSS_IJLi8ELi1ELi1ELi4EEEENSS_IJLi2ELi1ELi128ELi1EEEENSS_IJLi1ELi2ELi0ELi3EEEES1V_NSS_IJLi4ELi1ELi1ELi4EEEES1V_NSS_IJLi1ELi1ELi1ELi4EEEES1T_S1U_S1V_S1V_S1W_S1V_S1X_NSS_IJLi0ELi1ELi2ELi3ELi4ELi5EEEELi5ELi4EEEaNS5_IJPKaEEEaS8_S8_S9_NSB_INS5_IJSE_SG_SI_SG_SG_SK_SG_SM_SM_SO_SO_SQ_SG_SG_NSP_INS5_IJiNS_17integral_constantIiLi128EEEEEELb0EEENSF_INS23_IiLi4EEEEEEEENS5_IJST_SU_SV_SW_SX_SY_SZ_S10_S11_S12_S13_S14_S15_NSS_IJLi15EEEES1C_NSS_IJLi16EEEEEEENS5_IJS17_SX_SY_SZ_S18_S19_S1A_S12_S13_S15_S14_S1B_S1C_NSS_IJLi18EEEENSS_IJLi19ELi20EEEENSS_IJLi21EEEEEEENSS_IJLi18ELi19ELi20ELi21EEEElEENSB_INS5_IJSQ_SO_SO_SQ_SG_SG_S26_S28_EEENS5_IJST_SU_SV_SX_SW_SY_S18_SZ_EEENS5_IJS1I_SW_SX_S1J_S18_NSS_IJLi8EEEENSS_IJLi9ELi10EEEES12_EEENSS_IJLi8ELi9ELi10ELi11EEEElEENS5_IJNSB_INS5_IJSK_SO_SO_NSP_INS5_IJiNS23_IiLi2EEENS23_IiLi64EEEEEELb0EEES2T_EEENS5_IJST_SU_SV_SW_SX_EEENS5_IJS1I_SW_SX_NSS_IJLi5ELi6ELi7EEEENSS_IJLi8ELi9ELi10EEEEEEENSS_IJLi5ELi6ELi7ELi8ELi9ELi10EEEElEEEEES30_NS_31BlockToCTileMap_M00_N00_M01_N01ILi128ELi128ES1R_Lb0EEENS1_30ComputePtrOffsetOfStridedBatchILi1ELi1ELi1EvEELb1ELb0EEEvPKT0_S38_T1_PT2_T3_T4_T5_iT6_T7_T8_T9_T10_T11_.numbered_sgpr, 61
	.set _ZN2ck16tensor_operation6device12_GLOBAL__N_137kernel_grouped_conv_fwd_dl_multiple_dINS_32GridwiseGemmDlMultipleD_km_kn_mnILi256EaiNS_5TupleIJaEEEaNS0_12element_wise11PassThroughES8_NS7_7AddReluELNS_25InMemoryDataOperationEnumE0ENS_16TensorDescriptorINS5_IJNS_5EmbedINS5_IJiiiEEESD_Lb0EEENS_11PassThroughIiEENS_3PadIiiiLb0EEESG_SG_NSC_INS5_IJiiEEESJ_Lb0EEESG_NS_23Merge_v2_magic_divisionISJ_EESM_NS_8RightPadIiiLb0EEESO_NS_7UnMergeISJ_Lb0EEESG_EEENS5_IJNS_8SequenceIJLi0EEEENSS_IJLi1EEEENSS_IJLi2EEEENSS_IJLi3EEEENSS_IJLi4EEEENSS_IJLi5EEEENSS_IJLi6EEEENSS_IJLi7ELi9EEEENSS_IJLi8ELi10EEEENSS_IJLi11EEEENSS_IJLi12EEEENSS_IJLi14EEEENSS_IJLi13EEEEEEENS5_IJNSS_IJLi1ELi2ELi3EEEESX_SY_SZ_NSS_IJLi7EEEENSS_IJLi8ELi9EEEENSS_IJLi10EEEES12_S13_S15_S14_NSS_IJLi15ELi16EEEENSS_IJLi17EEEEEEENSS_IJLi15ELi17ELi16EEEElEENSB_INS5_IJSQ_SO_SO_SQ_SG_EEENS5_IJST_SU_SV_SX_SW_EEENS5_IJNSS_IJLi1ELi2EEEESW_SX_NSS_IJLi5ELi6EEEES18_EEENSS_IJLi5ELi7ELi6EEEElEENSB_INS5_IJSK_SO_SO_EEENS5_IJST_SU_SV_EEENS5_IJS1I_SW_SX_EEENSS_IJLi3ELi4EEEElEELi128ELi128ELi16ELi4ELi4ELi4ELi1ENSS_IJLi8ELi2EEEES1S_NSS_IJLi8ELi1ELi1ELi4EEEENSS_IJLi2ELi1ELi128ELi1EEEENSS_IJLi1ELi2ELi0ELi3EEEES1V_NSS_IJLi4ELi1ELi1ELi4EEEES1V_NSS_IJLi1ELi1ELi1ELi4EEEES1T_S1U_S1V_S1V_S1W_S1V_S1X_NSS_IJLi0ELi1ELi2ELi3ELi4ELi5EEEELi5ELi4EEEaNS5_IJPKaEEEaS8_S8_S9_NSB_INS5_IJSE_SG_SI_SG_SG_SK_SG_SM_SM_SO_SO_SQ_SG_SG_NSP_INS5_IJiNS_17integral_constantIiLi128EEEEEELb0EEENSF_INS23_IiLi4EEEEEEEENS5_IJST_SU_SV_SW_SX_SY_SZ_S10_S11_S12_S13_S14_S15_NSS_IJLi15EEEES1C_NSS_IJLi16EEEEEEENS5_IJS17_SX_SY_SZ_S18_S19_S1A_S12_S13_S15_S14_S1B_S1C_NSS_IJLi18EEEENSS_IJLi19ELi20EEEENSS_IJLi21EEEEEEENSS_IJLi18ELi19ELi20ELi21EEEElEENSB_INS5_IJSQ_SO_SO_SQ_SG_SG_S26_S28_EEENS5_IJST_SU_SV_SX_SW_SY_S18_SZ_EEENS5_IJS1I_SW_SX_S1J_S18_NSS_IJLi8EEEENSS_IJLi9ELi10EEEES12_EEENSS_IJLi8ELi9ELi10ELi11EEEElEENS5_IJNSB_INS5_IJSK_SO_SO_NSP_INS5_IJiNS23_IiLi2EEENS23_IiLi64EEEEEELb0EEES2T_EEENS5_IJST_SU_SV_SW_SX_EEENS5_IJS1I_SW_SX_NSS_IJLi5ELi6ELi7EEEENSS_IJLi8ELi9ELi10EEEEEEENSS_IJLi5ELi6ELi7ELi8ELi9ELi10EEEElEEEEES30_NS_31BlockToCTileMap_M00_N00_M01_N01ILi128ELi128ES1R_Lb0EEENS1_30ComputePtrOffsetOfStridedBatchILi1ELi1ELi1EvEELb1ELb0EEEvPKT0_S38_T1_PT2_T3_T4_T5_iT6_T7_T8_T9_T10_T11_.num_named_barrier, 0
	.set _ZN2ck16tensor_operation6device12_GLOBAL__N_137kernel_grouped_conv_fwd_dl_multiple_dINS_32GridwiseGemmDlMultipleD_km_kn_mnILi256EaiNS_5TupleIJaEEEaNS0_12element_wise11PassThroughES8_NS7_7AddReluELNS_25InMemoryDataOperationEnumE0ENS_16TensorDescriptorINS5_IJNS_5EmbedINS5_IJiiiEEESD_Lb0EEENS_11PassThroughIiEENS_3PadIiiiLb0EEESG_SG_NSC_INS5_IJiiEEESJ_Lb0EEESG_NS_23Merge_v2_magic_divisionISJ_EESM_NS_8RightPadIiiLb0EEESO_NS_7UnMergeISJ_Lb0EEESG_EEENS5_IJNS_8SequenceIJLi0EEEENSS_IJLi1EEEENSS_IJLi2EEEENSS_IJLi3EEEENSS_IJLi4EEEENSS_IJLi5EEEENSS_IJLi6EEEENSS_IJLi7ELi9EEEENSS_IJLi8ELi10EEEENSS_IJLi11EEEENSS_IJLi12EEEENSS_IJLi14EEEENSS_IJLi13EEEEEEENS5_IJNSS_IJLi1ELi2ELi3EEEESX_SY_SZ_NSS_IJLi7EEEENSS_IJLi8ELi9EEEENSS_IJLi10EEEES12_S13_S15_S14_NSS_IJLi15ELi16EEEENSS_IJLi17EEEEEEENSS_IJLi15ELi17ELi16EEEElEENSB_INS5_IJSQ_SO_SO_SQ_SG_EEENS5_IJST_SU_SV_SX_SW_EEENS5_IJNSS_IJLi1ELi2EEEESW_SX_NSS_IJLi5ELi6EEEES18_EEENSS_IJLi5ELi7ELi6EEEElEENSB_INS5_IJSK_SO_SO_EEENS5_IJST_SU_SV_EEENS5_IJS1I_SW_SX_EEENSS_IJLi3ELi4EEEElEELi128ELi128ELi16ELi4ELi4ELi4ELi1ENSS_IJLi8ELi2EEEES1S_NSS_IJLi8ELi1ELi1ELi4EEEENSS_IJLi2ELi1ELi128ELi1EEEENSS_IJLi1ELi2ELi0ELi3EEEES1V_NSS_IJLi4ELi1ELi1ELi4EEEES1V_NSS_IJLi1ELi1ELi1ELi4EEEES1T_S1U_S1V_S1V_S1W_S1V_S1X_NSS_IJLi0ELi1ELi2ELi3ELi4ELi5EEEELi5ELi4EEEaNS5_IJPKaEEEaS8_S8_S9_NSB_INS5_IJSE_SG_SI_SG_SG_SK_SG_SM_SM_SO_SO_SQ_SG_SG_NSP_INS5_IJiNS_17integral_constantIiLi128EEEEEELb0EEENSF_INS23_IiLi4EEEEEEEENS5_IJST_SU_SV_SW_SX_SY_SZ_S10_S11_S12_S13_S14_S15_NSS_IJLi15EEEES1C_NSS_IJLi16EEEEEEENS5_IJS17_SX_SY_SZ_S18_S19_S1A_S12_S13_S15_S14_S1B_S1C_NSS_IJLi18EEEENSS_IJLi19ELi20EEEENSS_IJLi21EEEEEEENSS_IJLi18ELi19ELi20ELi21EEEElEENSB_INS5_IJSQ_SO_SO_SQ_SG_SG_S26_S28_EEENS5_IJST_SU_SV_SX_SW_SY_S18_SZ_EEENS5_IJS1I_SW_SX_S1J_S18_NSS_IJLi8EEEENSS_IJLi9ELi10EEEES12_EEENSS_IJLi8ELi9ELi10ELi11EEEElEENS5_IJNSB_INS5_IJSK_SO_SO_NSP_INS5_IJiNS23_IiLi2EEENS23_IiLi64EEEEEELb0EEES2T_EEENS5_IJST_SU_SV_SW_SX_EEENS5_IJS1I_SW_SX_NSS_IJLi5ELi6ELi7EEEENSS_IJLi8ELi9ELi10EEEEEEENSS_IJLi5ELi6ELi7ELi8ELi9ELi10EEEElEEEEES30_NS_31BlockToCTileMap_M00_N00_M01_N01ILi128ELi128ES1R_Lb0EEENS1_30ComputePtrOffsetOfStridedBatchILi1ELi1ELi1EvEELb1ELb0EEEvPKT0_S38_T1_PT2_T3_T4_T5_iT6_T7_T8_T9_T10_T11_.private_seg_size, 0
	.set _ZN2ck16tensor_operation6device12_GLOBAL__N_137kernel_grouped_conv_fwd_dl_multiple_dINS_32GridwiseGemmDlMultipleD_km_kn_mnILi256EaiNS_5TupleIJaEEEaNS0_12element_wise11PassThroughES8_NS7_7AddReluELNS_25InMemoryDataOperationEnumE0ENS_16TensorDescriptorINS5_IJNS_5EmbedINS5_IJiiiEEESD_Lb0EEENS_11PassThroughIiEENS_3PadIiiiLb0EEESG_SG_NSC_INS5_IJiiEEESJ_Lb0EEESG_NS_23Merge_v2_magic_divisionISJ_EESM_NS_8RightPadIiiLb0EEESO_NS_7UnMergeISJ_Lb0EEESG_EEENS5_IJNS_8SequenceIJLi0EEEENSS_IJLi1EEEENSS_IJLi2EEEENSS_IJLi3EEEENSS_IJLi4EEEENSS_IJLi5EEEENSS_IJLi6EEEENSS_IJLi7ELi9EEEENSS_IJLi8ELi10EEEENSS_IJLi11EEEENSS_IJLi12EEEENSS_IJLi14EEEENSS_IJLi13EEEEEEENS5_IJNSS_IJLi1ELi2ELi3EEEESX_SY_SZ_NSS_IJLi7EEEENSS_IJLi8ELi9EEEENSS_IJLi10EEEES12_S13_S15_S14_NSS_IJLi15ELi16EEEENSS_IJLi17EEEEEEENSS_IJLi15ELi17ELi16EEEElEENSB_INS5_IJSQ_SO_SO_SQ_SG_EEENS5_IJST_SU_SV_SX_SW_EEENS5_IJNSS_IJLi1ELi2EEEESW_SX_NSS_IJLi5ELi6EEEES18_EEENSS_IJLi5ELi7ELi6EEEElEENSB_INS5_IJSK_SO_SO_EEENS5_IJST_SU_SV_EEENS5_IJS1I_SW_SX_EEENSS_IJLi3ELi4EEEElEELi128ELi128ELi16ELi4ELi4ELi4ELi1ENSS_IJLi8ELi2EEEES1S_NSS_IJLi8ELi1ELi1ELi4EEEENSS_IJLi2ELi1ELi128ELi1EEEENSS_IJLi1ELi2ELi0ELi3EEEES1V_NSS_IJLi4ELi1ELi1ELi4EEEES1V_NSS_IJLi1ELi1ELi1ELi4EEEES1T_S1U_S1V_S1V_S1W_S1V_S1X_NSS_IJLi0ELi1ELi2ELi3ELi4ELi5EEEELi5ELi4EEEaNS5_IJPKaEEEaS8_S8_S9_NSB_INS5_IJSE_SG_SI_SG_SG_SK_SG_SM_SM_SO_SO_SQ_SG_SG_NSP_INS5_IJiNS_17integral_constantIiLi128EEEEEELb0EEENSF_INS23_IiLi4EEEEEEEENS5_IJST_SU_SV_SW_SX_SY_SZ_S10_S11_S12_S13_S14_S15_NSS_IJLi15EEEES1C_NSS_IJLi16EEEEEEENS5_IJS17_SX_SY_SZ_S18_S19_S1A_S12_S13_S15_S14_S1B_S1C_NSS_IJLi18EEEENSS_IJLi19ELi20EEEENSS_IJLi21EEEEEEENSS_IJLi18ELi19ELi20ELi21EEEElEENSB_INS5_IJSQ_SO_SO_SQ_SG_SG_S26_S28_EEENS5_IJST_SU_SV_SX_SW_SY_S18_SZ_EEENS5_IJS1I_SW_SX_S1J_S18_NSS_IJLi8EEEENSS_IJLi9ELi10EEEES12_EEENSS_IJLi8ELi9ELi10ELi11EEEElEENS5_IJNSB_INS5_IJSK_SO_SO_NSP_INS5_IJiNS23_IiLi2EEENS23_IiLi64EEEEEELb0EEES2T_EEENS5_IJST_SU_SV_SW_SX_EEENS5_IJS1I_SW_SX_NSS_IJLi5ELi6ELi7EEEENSS_IJLi8ELi9ELi10EEEEEEENSS_IJLi5ELi6ELi7ELi8ELi9ELi10EEEElEEEEES30_NS_31BlockToCTileMap_M00_N00_M01_N01ILi128ELi128ES1R_Lb0EEENS1_30ComputePtrOffsetOfStridedBatchILi1ELi1ELi1EvEELb1ELb0EEEvPKT0_S38_T1_PT2_T3_T4_T5_iT6_T7_T8_T9_T10_T11_.uses_vcc, 1
	.set _ZN2ck16tensor_operation6device12_GLOBAL__N_137kernel_grouped_conv_fwd_dl_multiple_dINS_32GridwiseGemmDlMultipleD_km_kn_mnILi256EaiNS_5TupleIJaEEEaNS0_12element_wise11PassThroughES8_NS7_7AddReluELNS_25InMemoryDataOperationEnumE0ENS_16TensorDescriptorINS5_IJNS_5EmbedINS5_IJiiiEEESD_Lb0EEENS_11PassThroughIiEENS_3PadIiiiLb0EEESG_SG_NSC_INS5_IJiiEEESJ_Lb0EEESG_NS_23Merge_v2_magic_divisionISJ_EESM_NS_8RightPadIiiLb0EEESO_NS_7UnMergeISJ_Lb0EEESG_EEENS5_IJNS_8SequenceIJLi0EEEENSS_IJLi1EEEENSS_IJLi2EEEENSS_IJLi3EEEENSS_IJLi4EEEENSS_IJLi5EEEENSS_IJLi6EEEENSS_IJLi7ELi9EEEENSS_IJLi8ELi10EEEENSS_IJLi11EEEENSS_IJLi12EEEENSS_IJLi14EEEENSS_IJLi13EEEEEEENS5_IJNSS_IJLi1ELi2ELi3EEEESX_SY_SZ_NSS_IJLi7EEEENSS_IJLi8ELi9EEEENSS_IJLi10EEEES12_S13_S15_S14_NSS_IJLi15ELi16EEEENSS_IJLi17EEEEEEENSS_IJLi15ELi17ELi16EEEElEENSB_INS5_IJSQ_SO_SO_SQ_SG_EEENS5_IJST_SU_SV_SX_SW_EEENS5_IJNSS_IJLi1ELi2EEEESW_SX_NSS_IJLi5ELi6EEEES18_EEENSS_IJLi5ELi7ELi6EEEElEENSB_INS5_IJSK_SO_SO_EEENS5_IJST_SU_SV_EEENS5_IJS1I_SW_SX_EEENSS_IJLi3ELi4EEEElEELi128ELi128ELi16ELi4ELi4ELi4ELi1ENSS_IJLi8ELi2EEEES1S_NSS_IJLi8ELi1ELi1ELi4EEEENSS_IJLi2ELi1ELi128ELi1EEEENSS_IJLi1ELi2ELi0ELi3EEEES1V_NSS_IJLi4ELi1ELi1ELi4EEEES1V_NSS_IJLi1ELi1ELi1ELi4EEEES1T_S1U_S1V_S1V_S1W_S1V_S1X_NSS_IJLi0ELi1ELi2ELi3ELi4ELi5EEEELi5ELi4EEEaNS5_IJPKaEEEaS8_S8_S9_NSB_INS5_IJSE_SG_SI_SG_SG_SK_SG_SM_SM_SO_SO_SQ_SG_SG_NSP_INS5_IJiNS_17integral_constantIiLi128EEEEEELb0EEENSF_INS23_IiLi4EEEEEEEENS5_IJST_SU_SV_SW_SX_SY_SZ_S10_S11_S12_S13_S14_S15_NSS_IJLi15EEEES1C_NSS_IJLi16EEEEEEENS5_IJS17_SX_SY_SZ_S18_S19_S1A_S12_S13_S15_S14_S1B_S1C_NSS_IJLi18EEEENSS_IJLi19ELi20EEEENSS_IJLi21EEEEEEENSS_IJLi18ELi19ELi20ELi21EEEElEENSB_INS5_IJSQ_SO_SO_SQ_SG_SG_S26_S28_EEENS5_IJST_SU_SV_SX_SW_SY_S18_SZ_EEENS5_IJS1I_SW_SX_S1J_S18_NSS_IJLi8EEEENSS_IJLi9ELi10EEEES12_EEENSS_IJLi8ELi9ELi10ELi11EEEElEENS5_IJNSB_INS5_IJSK_SO_SO_NSP_INS5_IJiNS23_IiLi2EEENS23_IiLi64EEEEEELb0EEES2T_EEENS5_IJST_SU_SV_SW_SX_EEENS5_IJS1I_SW_SX_NSS_IJLi5ELi6ELi7EEEENSS_IJLi8ELi9ELi10EEEEEEENSS_IJLi5ELi6ELi7ELi8ELi9ELi10EEEElEEEEES30_NS_31BlockToCTileMap_M00_N00_M01_N01ILi128ELi128ES1R_Lb0EEENS1_30ComputePtrOffsetOfStridedBatchILi1ELi1ELi1EvEELb1ELb0EEEvPKT0_S38_T1_PT2_T3_T4_T5_iT6_T7_T8_T9_T10_T11_.uses_flat_scratch, 0
	.set _ZN2ck16tensor_operation6device12_GLOBAL__N_137kernel_grouped_conv_fwd_dl_multiple_dINS_32GridwiseGemmDlMultipleD_km_kn_mnILi256EaiNS_5TupleIJaEEEaNS0_12element_wise11PassThroughES8_NS7_7AddReluELNS_25InMemoryDataOperationEnumE0ENS_16TensorDescriptorINS5_IJNS_5EmbedINS5_IJiiiEEESD_Lb0EEENS_11PassThroughIiEENS_3PadIiiiLb0EEESG_SG_NSC_INS5_IJiiEEESJ_Lb0EEESG_NS_23Merge_v2_magic_divisionISJ_EESM_NS_8RightPadIiiLb0EEESO_NS_7UnMergeISJ_Lb0EEESG_EEENS5_IJNS_8SequenceIJLi0EEEENSS_IJLi1EEEENSS_IJLi2EEEENSS_IJLi3EEEENSS_IJLi4EEEENSS_IJLi5EEEENSS_IJLi6EEEENSS_IJLi7ELi9EEEENSS_IJLi8ELi10EEEENSS_IJLi11EEEENSS_IJLi12EEEENSS_IJLi14EEEENSS_IJLi13EEEEEEENS5_IJNSS_IJLi1ELi2ELi3EEEESX_SY_SZ_NSS_IJLi7EEEENSS_IJLi8ELi9EEEENSS_IJLi10EEEES12_S13_S15_S14_NSS_IJLi15ELi16EEEENSS_IJLi17EEEEEEENSS_IJLi15ELi17ELi16EEEElEENSB_INS5_IJSQ_SO_SO_SQ_SG_EEENS5_IJST_SU_SV_SX_SW_EEENS5_IJNSS_IJLi1ELi2EEEESW_SX_NSS_IJLi5ELi6EEEES18_EEENSS_IJLi5ELi7ELi6EEEElEENSB_INS5_IJSK_SO_SO_EEENS5_IJST_SU_SV_EEENS5_IJS1I_SW_SX_EEENSS_IJLi3ELi4EEEElEELi128ELi128ELi16ELi4ELi4ELi4ELi1ENSS_IJLi8ELi2EEEES1S_NSS_IJLi8ELi1ELi1ELi4EEEENSS_IJLi2ELi1ELi128ELi1EEEENSS_IJLi1ELi2ELi0ELi3EEEES1V_NSS_IJLi4ELi1ELi1ELi4EEEES1V_NSS_IJLi1ELi1ELi1ELi4EEEES1T_S1U_S1V_S1V_S1W_S1V_S1X_NSS_IJLi0ELi1ELi2ELi3ELi4ELi5EEEELi5ELi4EEEaNS5_IJPKaEEEaS8_S8_S9_NSB_INS5_IJSE_SG_SI_SG_SG_SK_SG_SM_SM_SO_SO_SQ_SG_SG_NSP_INS5_IJiNS_17integral_constantIiLi128EEEEEELb0EEENSF_INS23_IiLi4EEEEEEEENS5_IJST_SU_SV_SW_SX_SY_SZ_S10_S11_S12_S13_S14_S15_NSS_IJLi15EEEES1C_NSS_IJLi16EEEEEEENS5_IJS17_SX_SY_SZ_S18_S19_S1A_S12_S13_S15_S14_S1B_S1C_NSS_IJLi18EEEENSS_IJLi19ELi20EEEENSS_IJLi21EEEEEEENSS_IJLi18ELi19ELi20ELi21EEEElEENSB_INS5_IJSQ_SO_SO_SQ_SG_SG_S26_S28_EEENS5_IJST_SU_SV_SX_SW_SY_S18_SZ_EEENS5_IJS1I_SW_SX_S1J_S18_NSS_IJLi8EEEENSS_IJLi9ELi10EEEES12_EEENSS_IJLi8ELi9ELi10ELi11EEEElEENS5_IJNSB_INS5_IJSK_SO_SO_NSP_INS5_IJiNS23_IiLi2EEENS23_IiLi64EEEEEELb0EEES2T_EEENS5_IJST_SU_SV_SW_SX_EEENS5_IJS1I_SW_SX_NSS_IJLi5ELi6ELi7EEEENSS_IJLi8ELi9ELi10EEEEEEENSS_IJLi5ELi6ELi7ELi8ELi9ELi10EEEElEEEEES30_NS_31BlockToCTileMap_M00_N00_M01_N01ILi128ELi128ES1R_Lb0EEENS1_30ComputePtrOffsetOfStridedBatchILi1ELi1ELi1EvEELb1ELb0EEEvPKT0_S38_T1_PT2_T3_T4_T5_iT6_T7_T8_T9_T10_T11_.has_dyn_sized_stack, 0
	.set _ZN2ck16tensor_operation6device12_GLOBAL__N_137kernel_grouped_conv_fwd_dl_multiple_dINS_32GridwiseGemmDlMultipleD_km_kn_mnILi256EaiNS_5TupleIJaEEEaNS0_12element_wise11PassThroughES8_NS7_7AddReluELNS_25InMemoryDataOperationEnumE0ENS_16TensorDescriptorINS5_IJNS_5EmbedINS5_IJiiiEEESD_Lb0EEENS_11PassThroughIiEENS_3PadIiiiLb0EEESG_SG_NSC_INS5_IJiiEEESJ_Lb0EEESG_NS_23Merge_v2_magic_divisionISJ_EESM_NS_8RightPadIiiLb0EEESO_NS_7UnMergeISJ_Lb0EEESG_EEENS5_IJNS_8SequenceIJLi0EEEENSS_IJLi1EEEENSS_IJLi2EEEENSS_IJLi3EEEENSS_IJLi4EEEENSS_IJLi5EEEENSS_IJLi6EEEENSS_IJLi7ELi9EEEENSS_IJLi8ELi10EEEENSS_IJLi11EEEENSS_IJLi12EEEENSS_IJLi14EEEENSS_IJLi13EEEEEEENS5_IJNSS_IJLi1ELi2ELi3EEEESX_SY_SZ_NSS_IJLi7EEEENSS_IJLi8ELi9EEEENSS_IJLi10EEEES12_S13_S15_S14_NSS_IJLi15ELi16EEEENSS_IJLi17EEEEEEENSS_IJLi15ELi17ELi16EEEElEENSB_INS5_IJSQ_SO_SO_SQ_SG_EEENS5_IJST_SU_SV_SX_SW_EEENS5_IJNSS_IJLi1ELi2EEEESW_SX_NSS_IJLi5ELi6EEEES18_EEENSS_IJLi5ELi7ELi6EEEElEENSB_INS5_IJSK_SO_SO_EEENS5_IJST_SU_SV_EEENS5_IJS1I_SW_SX_EEENSS_IJLi3ELi4EEEElEELi128ELi128ELi16ELi4ELi4ELi4ELi1ENSS_IJLi8ELi2EEEES1S_NSS_IJLi8ELi1ELi1ELi4EEEENSS_IJLi2ELi1ELi128ELi1EEEENSS_IJLi1ELi2ELi0ELi3EEEES1V_NSS_IJLi4ELi1ELi1ELi4EEEES1V_NSS_IJLi1ELi1ELi1ELi4EEEES1T_S1U_S1V_S1V_S1W_S1V_S1X_NSS_IJLi0ELi1ELi2ELi3ELi4ELi5EEEELi5ELi4EEEaNS5_IJPKaEEEaS8_S8_S9_NSB_INS5_IJSE_SG_SI_SG_SG_SK_SG_SM_SM_SO_SO_SQ_SG_SG_NSP_INS5_IJiNS_17integral_constantIiLi128EEEEEELb0EEENSF_INS23_IiLi4EEEEEEEENS5_IJST_SU_SV_SW_SX_SY_SZ_S10_S11_S12_S13_S14_S15_NSS_IJLi15EEEES1C_NSS_IJLi16EEEEEEENS5_IJS17_SX_SY_SZ_S18_S19_S1A_S12_S13_S15_S14_S1B_S1C_NSS_IJLi18EEEENSS_IJLi19ELi20EEEENSS_IJLi21EEEEEEENSS_IJLi18ELi19ELi20ELi21EEEElEENSB_INS5_IJSQ_SO_SO_SQ_SG_SG_S26_S28_EEENS5_IJST_SU_SV_SX_SW_SY_S18_SZ_EEENS5_IJS1I_SW_SX_S1J_S18_NSS_IJLi8EEEENSS_IJLi9ELi10EEEES12_EEENSS_IJLi8ELi9ELi10ELi11EEEElEENS5_IJNSB_INS5_IJSK_SO_SO_NSP_INS5_IJiNS23_IiLi2EEENS23_IiLi64EEEEEELb0EEES2T_EEENS5_IJST_SU_SV_SW_SX_EEENS5_IJS1I_SW_SX_NSS_IJLi5ELi6ELi7EEEENSS_IJLi8ELi9ELi10EEEEEEENSS_IJLi5ELi6ELi7ELi8ELi9ELi10EEEElEEEEES30_NS_31BlockToCTileMap_M00_N00_M01_N01ILi128ELi128ES1R_Lb0EEENS1_30ComputePtrOffsetOfStridedBatchILi1ELi1ELi1EvEELb1ELb0EEEvPKT0_S38_T1_PT2_T3_T4_T5_iT6_T7_T8_T9_T10_T11_.has_recursion, 0
	.set _ZN2ck16tensor_operation6device12_GLOBAL__N_137kernel_grouped_conv_fwd_dl_multiple_dINS_32GridwiseGemmDlMultipleD_km_kn_mnILi256EaiNS_5TupleIJaEEEaNS0_12element_wise11PassThroughES8_NS7_7AddReluELNS_25InMemoryDataOperationEnumE0ENS_16TensorDescriptorINS5_IJNS_5EmbedINS5_IJiiiEEESD_Lb0EEENS_11PassThroughIiEENS_3PadIiiiLb0EEESG_SG_NSC_INS5_IJiiEEESJ_Lb0EEESG_NS_23Merge_v2_magic_divisionISJ_EESM_NS_8RightPadIiiLb0EEESO_NS_7UnMergeISJ_Lb0EEESG_EEENS5_IJNS_8SequenceIJLi0EEEENSS_IJLi1EEEENSS_IJLi2EEEENSS_IJLi3EEEENSS_IJLi4EEEENSS_IJLi5EEEENSS_IJLi6EEEENSS_IJLi7ELi9EEEENSS_IJLi8ELi10EEEENSS_IJLi11EEEENSS_IJLi12EEEENSS_IJLi14EEEENSS_IJLi13EEEEEEENS5_IJNSS_IJLi1ELi2ELi3EEEESX_SY_SZ_NSS_IJLi7EEEENSS_IJLi8ELi9EEEENSS_IJLi10EEEES12_S13_S15_S14_NSS_IJLi15ELi16EEEENSS_IJLi17EEEEEEENSS_IJLi15ELi17ELi16EEEElEENSB_INS5_IJSQ_SO_SO_SQ_SG_EEENS5_IJST_SU_SV_SX_SW_EEENS5_IJNSS_IJLi1ELi2EEEESW_SX_NSS_IJLi5ELi6EEEES18_EEENSS_IJLi5ELi7ELi6EEEElEENSB_INS5_IJSK_SO_SO_EEENS5_IJST_SU_SV_EEENS5_IJS1I_SW_SX_EEENSS_IJLi3ELi4EEEElEELi128ELi128ELi16ELi4ELi4ELi4ELi1ENSS_IJLi8ELi2EEEES1S_NSS_IJLi8ELi1ELi1ELi4EEEENSS_IJLi2ELi1ELi128ELi1EEEENSS_IJLi1ELi2ELi0ELi3EEEES1V_NSS_IJLi4ELi1ELi1ELi4EEEES1V_NSS_IJLi1ELi1ELi1ELi4EEEES1T_S1U_S1V_S1V_S1W_S1V_S1X_NSS_IJLi0ELi1ELi2ELi3ELi4ELi5EEEELi5ELi4EEEaNS5_IJPKaEEEaS8_S8_S9_NSB_INS5_IJSE_SG_SI_SG_SG_SK_SG_SM_SM_SO_SO_SQ_SG_SG_NSP_INS5_IJiNS_17integral_constantIiLi128EEEEEELb0EEENSF_INS23_IiLi4EEEEEEEENS5_IJST_SU_SV_SW_SX_SY_SZ_S10_S11_S12_S13_S14_S15_NSS_IJLi15EEEES1C_NSS_IJLi16EEEEEEENS5_IJS17_SX_SY_SZ_S18_S19_S1A_S12_S13_S15_S14_S1B_S1C_NSS_IJLi18EEEENSS_IJLi19ELi20EEEENSS_IJLi21EEEEEEENSS_IJLi18ELi19ELi20ELi21EEEElEENSB_INS5_IJSQ_SO_SO_SQ_SG_SG_S26_S28_EEENS5_IJST_SU_SV_SX_SW_SY_S18_SZ_EEENS5_IJS1I_SW_SX_S1J_S18_NSS_IJLi8EEEENSS_IJLi9ELi10EEEES12_EEENSS_IJLi8ELi9ELi10ELi11EEEElEENS5_IJNSB_INS5_IJSK_SO_SO_NSP_INS5_IJiNS23_IiLi2EEENS23_IiLi64EEEEEELb0EEES2T_EEENS5_IJST_SU_SV_SW_SX_EEENS5_IJS1I_SW_SX_NSS_IJLi5ELi6ELi7EEEENSS_IJLi8ELi9ELi10EEEEEEENSS_IJLi5ELi6ELi7ELi8ELi9ELi10EEEElEEEEES30_NS_31BlockToCTileMap_M00_N00_M01_N01ILi128ELi128ES1R_Lb0EEENS1_30ComputePtrOffsetOfStridedBatchILi1ELi1ELi1EvEELb1ELb0EEEvPKT0_S38_T1_PT2_T3_T4_T5_iT6_T7_T8_T9_T10_T11_.has_indirect_call, 0
	.section	.AMDGPU.csdata,"",@progbits
; Kernel info:
; codeLenInByte = 33600
; TotalNumSgprs: 63
; NumVgprs: 203
; ScratchSize: 0
; MemoryBound: 0
; FloatMode: 240
; IeeeMode: 1
; LDSByteSize: 32768 bytes/workgroup (compile time only)
; SGPRBlocks: 0
; VGPRBlocks: 25
; NumSGPRsForWavesPerEU: 63
; NumVGPRsForWavesPerEU: 203
; Occupancy: 7
; WaveLimiterHint : 0
; COMPUTE_PGM_RSRC2:SCRATCH_EN: 0
; COMPUTE_PGM_RSRC2:USER_SGPR: 2
; COMPUTE_PGM_RSRC2:TRAP_HANDLER: 0
; COMPUTE_PGM_RSRC2:TGID_X_EN: 1
; COMPUTE_PGM_RSRC2:TGID_Y_EN: 0
; COMPUTE_PGM_RSRC2:TGID_Z_EN: 0
; COMPUTE_PGM_RSRC2:TIDIG_COMP_CNT: 0
	.section	.text._ZN2ck16tensor_operation6device12_GLOBAL__N_137kernel_grouped_conv_fwd_dl_multiple_dINS_32GridwiseGemmDlMultipleD_km_kn_mnILi256EaiNS_5TupleIJaEEEaNS0_12element_wise11PassThroughES8_NS7_7AddReluELNS_25InMemoryDataOperationEnumE0ENS_16TensorDescriptorINS5_IJNS_5EmbedINS5_IJiiiEEESD_Lb0EEENS_11PassThroughIiEENS_3PadIiiiLb0EEESG_SG_NSC_INS5_IJiiEEESJ_Lb0EEESG_NS_23Merge_v2_magic_divisionISJ_EESM_NS_8RightPadIiiLb0EEESO_NS_7UnMergeISJ_Lb0EEESG_EEENS5_IJNS_8SequenceIJLi0EEEENSS_IJLi1EEEENSS_IJLi2EEEENSS_IJLi3EEEENSS_IJLi4EEEENSS_IJLi5EEEENSS_IJLi6EEEENSS_IJLi7ELi9EEEENSS_IJLi8ELi10EEEENSS_IJLi11EEEENSS_IJLi12EEEENSS_IJLi14EEEENSS_IJLi13EEEEEEENS5_IJNSS_IJLi1ELi2ELi3EEEESX_SY_SZ_NSS_IJLi7EEEENSS_IJLi8ELi9EEEENSS_IJLi10EEEES12_S13_S15_S14_NSS_IJLi15ELi16EEEENSS_IJLi17EEEEEEENSS_IJLi15ELi17ELi16EEEElEENSB_INS5_IJSQ_SO_SO_SQ_SG_EEENS5_IJST_SU_SV_SX_SW_EEENS5_IJNSS_IJLi1ELi2EEEESW_SX_NSS_IJLi5ELi6EEEES18_EEENSS_IJLi5ELi7ELi6EEEElEENSB_INS5_IJSK_SO_SO_EEENS5_IJST_SU_SV_EEENS5_IJS1I_SW_SX_EEENSS_IJLi3ELi4EEEElEELi128ELi128ELi16ELi4ELi4ELi4ELi1ENSS_IJLi8ELi2EEEES1S_NSS_IJLi8ELi1ELi1ELi4EEEENSS_IJLi2ELi1ELi128ELi1EEEENSS_IJLi1ELi2ELi0ELi3EEEES1V_NSS_IJLi4ELi1ELi1ELi4EEEES1V_NSS_IJLi1ELi1ELi1ELi4EEEES1T_S1U_S1V_S1V_S1W_S1V_S1X_NSS_IJLi0ELi1ELi2ELi3ELi4ELi5EEEELi5ELi4EEEaNS5_IJPKaEEEaS8_S8_S9_NSB_INS5_IJSE_SG_SI_SG_SG_SK_SG_SM_SM_SO_SO_SQ_SG_SG_NSP_INS5_IJiNS_17integral_constantIiLi128EEEEEELb0EEENSF_INS23_IiLi4EEEEEEEENS5_IJST_SU_SV_SW_SX_SY_SZ_S10_S11_S12_S13_S14_S15_NSS_IJLi15EEEES1C_NSS_IJLi16EEEEEEENS5_IJS17_SX_SY_SZ_S18_S19_S1A_S12_S13_S15_S14_S1B_S1C_NSS_IJLi18EEEENSS_IJLi19ELi20EEEENSS_IJLi21EEEEEEENSS_IJLi18ELi19ELi20ELi21EEEElEENSB_INS5_IJSQ_SO_SO_SQ_SG_SG_S26_S28_EEENS5_IJST_SU_SV_SX_SW_SY_S18_SZ_EEENS5_IJS1I_SW_SX_S1J_S18_NSS_IJLi8EEEENSS_IJLi9ELi10EEEES12_EEENSS_IJLi8ELi9ELi10ELi11EEEElEENS5_IJNSB_INS5_IJSK_SO_SO_NSP_INS5_IJiNS23_IiLi2EEENS23_IiLi64EEEEEELb0EEES2T_EEENS5_IJST_SU_SV_SW_SX_EEENS5_IJS1I_SW_SX_NSS_IJLi5ELi6ELi7EEEENSS_IJLi8ELi9ELi10EEEEEEENSS_IJLi5ELi6ELi7ELi8ELi9ELi10EEEElEEEEES30_NS_31BlockToCTileMap_M00_N00_M01_N01ILi128ELi128ES1R_Lb0EEENS1_30ComputePtrOffsetOfStridedBatchILi1ELi1ELi1EvEELb0ELb1EEEvPKT0_S38_T1_PT2_T3_T4_T5_iT6_T7_T8_T9_T10_T11_,"axG",@progbits,_ZN2ck16tensor_operation6device12_GLOBAL__N_137kernel_grouped_conv_fwd_dl_multiple_dINS_32GridwiseGemmDlMultipleD_km_kn_mnILi256EaiNS_5TupleIJaEEEaNS0_12element_wise11PassThroughES8_NS7_7AddReluELNS_25InMemoryDataOperationEnumE0ENS_16TensorDescriptorINS5_IJNS_5EmbedINS5_IJiiiEEESD_Lb0EEENS_11PassThroughIiEENS_3PadIiiiLb0EEESG_SG_NSC_INS5_IJiiEEESJ_Lb0EEESG_NS_23Merge_v2_magic_divisionISJ_EESM_NS_8RightPadIiiLb0EEESO_NS_7UnMergeISJ_Lb0EEESG_EEENS5_IJNS_8SequenceIJLi0EEEENSS_IJLi1EEEENSS_IJLi2EEEENSS_IJLi3EEEENSS_IJLi4EEEENSS_IJLi5EEEENSS_IJLi6EEEENSS_IJLi7ELi9EEEENSS_IJLi8ELi10EEEENSS_IJLi11EEEENSS_IJLi12EEEENSS_IJLi14EEEENSS_IJLi13EEEEEEENS5_IJNSS_IJLi1ELi2ELi3EEEESX_SY_SZ_NSS_IJLi7EEEENSS_IJLi8ELi9EEEENSS_IJLi10EEEES12_S13_S15_S14_NSS_IJLi15ELi16EEEENSS_IJLi17EEEEEEENSS_IJLi15ELi17ELi16EEEElEENSB_INS5_IJSQ_SO_SO_SQ_SG_EEENS5_IJST_SU_SV_SX_SW_EEENS5_IJNSS_IJLi1ELi2EEEESW_SX_NSS_IJLi5ELi6EEEES18_EEENSS_IJLi5ELi7ELi6EEEElEENSB_INS5_IJSK_SO_SO_EEENS5_IJST_SU_SV_EEENS5_IJS1I_SW_SX_EEENSS_IJLi3ELi4EEEElEELi128ELi128ELi16ELi4ELi4ELi4ELi1ENSS_IJLi8ELi2EEEES1S_NSS_IJLi8ELi1ELi1ELi4EEEENSS_IJLi2ELi1ELi128ELi1EEEENSS_IJLi1ELi2ELi0ELi3EEEES1V_NSS_IJLi4ELi1ELi1ELi4EEEES1V_NSS_IJLi1ELi1ELi1ELi4EEEES1T_S1U_S1V_S1V_S1W_S1V_S1X_NSS_IJLi0ELi1ELi2ELi3ELi4ELi5EEEELi5ELi4EEEaNS5_IJPKaEEEaS8_S8_S9_NSB_INS5_IJSE_SG_SI_SG_SG_SK_SG_SM_SM_SO_SO_SQ_SG_SG_NSP_INS5_IJiNS_17integral_constantIiLi128EEEEEELb0EEENSF_INS23_IiLi4EEEEEEEENS5_IJST_SU_SV_SW_SX_SY_SZ_S10_S11_S12_S13_S14_S15_NSS_IJLi15EEEES1C_NSS_IJLi16EEEEEEENS5_IJS17_SX_SY_SZ_S18_S19_S1A_S12_S13_S15_S14_S1B_S1C_NSS_IJLi18EEEENSS_IJLi19ELi20EEEENSS_IJLi21EEEEEEENSS_IJLi18ELi19ELi20ELi21EEEElEENSB_INS5_IJSQ_SO_SO_SQ_SG_SG_S26_S28_EEENS5_IJST_SU_SV_SX_SW_SY_S18_SZ_EEENS5_IJS1I_SW_SX_S1J_S18_NSS_IJLi8EEEENSS_IJLi9ELi10EEEES12_EEENSS_IJLi8ELi9ELi10ELi11EEEElEENS5_IJNSB_INS5_IJSK_SO_SO_NSP_INS5_IJiNS23_IiLi2EEENS23_IiLi64EEEEEELb0EEES2T_EEENS5_IJST_SU_SV_SW_SX_EEENS5_IJS1I_SW_SX_NSS_IJLi5ELi6ELi7EEEENSS_IJLi8ELi9ELi10EEEEEEENSS_IJLi5ELi6ELi7ELi8ELi9ELi10EEEElEEEEES30_NS_31BlockToCTileMap_M00_N00_M01_N01ILi128ELi128ES1R_Lb0EEENS1_30ComputePtrOffsetOfStridedBatchILi1ELi1ELi1EvEELb0ELb1EEEvPKT0_S38_T1_PT2_T3_T4_T5_iT6_T7_T8_T9_T10_T11_,comdat
	.globl	_ZN2ck16tensor_operation6device12_GLOBAL__N_137kernel_grouped_conv_fwd_dl_multiple_dINS_32GridwiseGemmDlMultipleD_km_kn_mnILi256EaiNS_5TupleIJaEEEaNS0_12element_wise11PassThroughES8_NS7_7AddReluELNS_25InMemoryDataOperationEnumE0ENS_16TensorDescriptorINS5_IJNS_5EmbedINS5_IJiiiEEESD_Lb0EEENS_11PassThroughIiEENS_3PadIiiiLb0EEESG_SG_NSC_INS5_IJiiEEESJ_Lb0EEESG_NS_23Merge_v2_magic_divisionISJ_EESM_NS_8RightPadIiiLb0EEESO_NS_7UnMergeISJ_Lb0EEESG_EEENS5_IJNS_8SequenceIJLi0EEEENSS_IJLi1EEEENSS_IJLi2EEEENSS_IJLi3EEEENSS_IJLi4EEEENSS_IJLi5EEEENSS_IJLi6EEEENSS_IJLi7ELi9EEEENSS_IJLi8ELi10EEEENSS_IJLi11EEEENSS_IJLi12EEEENSS_IJLi14EEEENSS_IJLi13EEEEEEENS5_IJNSS_IJLi1ELi2ELi3EEEESX_SY_SZ_NSS_IJLi7EEEENSS_IJLi8ELi9EEEENSS_IJLi10EEEES12_S13_S15_S14_NSS_IJLi15ELi16EEEENSS_IJLi17EEEEEEENSS_IJLi15ELi17ELi16EEEElEENSB_INS5_IJSQ_SO_SO_SQ_SG_EEENS5_IJST_SU_SV_SX_SW_EEENS5_IJNSS_IJLi1ELi2EEEESW_SX_NSS_IJLi5ELi6EEEES18_EEENSS_IJLi5ELi7ELi6EEEElEENSB_INS5_IJSK_SO_SO_EEENS5_IJST_SU_SV_EEENS5_IJS1I_SW_SX_EEENSS_IJLi3ELi4EEEElEELi128ELi128ELi16ELi4ELi4ELi4ELi1ENSS_IJLi8ELi2EEEES1S_NSS_IJLi8ELi1ELi1ELi4EEEENSS_IJLi2ELi1ELi128ELi1EEEENSS_IJLi1ELi2ELi0ELi3EEEES1V_NSS_IJLi4ELi1ELi1ELi4EEEES1V_NSS_IJLi1ELi1ELi1ELi4EEEES1T_S1U_S1V_S1V_S1W_S1V_S1X_NSS_IJLi0ELi1ELi2ELi3ELi4ELi5EEEELi5ELi4EEEaNS5_IJPKaEEEaS8_S8_S9_NSB_INS5_IJSE_SG_SI_SG_SG_SK_SG_SM_SM_SO_SO_SQ_SG_SG_NSP_INS5_IJiNS_17integral_constantIiLi128EEEEEELb0EEENSF_INS23_IiLi4EEEEEEEENS5_IJST_SU_SV_SW_SX_SY_SZ_S10_S11_S12_S13_S14_S15_NSS_IJLi15EEEES1C_NSS_IJLi16EEEEEEENS5_IJS17_SX_SY_SZ_S18_S19_S1A_S12_S13_S15_S14_S1B_S1C_NSS_IJLi18EEEENSS_IJLi19ELi20EEEENSS_IJLi21EEEEEEENSS_IJLi18ELi19ELi20ELi21EEEElEENSB_INS5_IJSQ_SO_SO_SQ_SG_SG_S26_S28_EEENS5_IJST_SU_SV_SX_SW_SY_S18_SZ_EEENS5_IJS1I_SW_SX_S1J_S18_NSS_IJLi8EEEENSS_IJLi9ELi10EEEES12_EEENSS_IJLi8ELi9ELi10ELi11EEEElEENS5_IJNSB_INS5_IJSK_SO_SO_NSP_INS5_IJiNS23_IiLi2EEENS23_IiLi64EEEEEELb0EEES2T_EEENS5_IJST_SU_SV_SW_SX_EEENS5_IJS1I_SW_SX_NSS_IJLi5ELi6ELi7EEEENSS_IJLi8ELi9ELi10EEEEEEENSS_IJLi5ELi6ELi7ELi8ELi9ELi10EEEElEEEEES30_NS_31BlockToCTileMap_M00_N00_M01_N01ILi128ELi128ES1R_Lb0EEENS1_30ComputePtrOffsetOfStridedBatchILi1ELi1ELi1EvEELb0ELb1EEEvPKT0_S38_T1_PT2_T3_T4_T5_iT6_T7_T8_T9_T10_T11_ ; -- Begin function _ZN2ck16tensor_operation6device12_GLOBAL__N_137kernel_grouped_conv_fwd_dl_multiple_dINS_32GridwiseGemmDlMultipleD_km_kn_mnILi256EaiNS_5TupleIJaEEEaNS0_12element_wise11PassThroughES8_NS7_7AddReluELNS_25InMemoryDataOperationEnumE0ENS_16TensorDescriptorINS5_IJNS_5EmbedINS5_IJiiiEEESD_Lb0EEENS_11PassThroughIiEENS_3PadIiiiLb0EEESG_SG_NSC_INS5_IJiiEEESJ_Lb0EEESG_NS_23Merge_v2_magic_divisionISJ_EESM_NS_8RightPadIiiLb0EEESO_NS_7UnMergeISJ_Lb0EEESG_EEENS5_IJNS_8SequenceIJLi0EEEENSS_IJLi1EEEENSS_IJLi2EEEENSS_IJLi3EEEENSS_IJLi4EEEENSS_IJLi5EEEENSS_IJLi6EEEENSS_IJLi7ELi9EEEENSS_IJLi8ELi10EEEENSS_IJLi11EEEENSS_IJLi12EEEENSS_IJLi14EEEENSS_IJLi13EEEEEEENS5_IJNSS_IJLi1ELi2ELi3EEEESX_SY_SZ_NSS_IJLi7EEEENSS_IJLi8ELi9EEEENSS_IJLi10EEEES12_S13_S15_S14_NSS_IJLi15ELi16EEEENSS_IJLi17EEEEEEENSS_IJLi15ELi17ELi16EEEElEENSB_INS5_IJSQ_SO_SO_SQ_SG_EEENS5_IJST_SU_SV_SX_SW_EEENS5_IJNSS_IJLi1ELi2EEEESW_SX_NSS_IJLi5ELi6EEEES18_EEENSS_IJLi5ELi7ELi6EEEElEENSB_INS5_IJSK_SO_SO_EEENS5_IJST_SU_SV_EEENS5_IJS1I_SW_SX_EEENSS_IJLi3ELi4EEEElEELi128ELi128ELi16ELi4ELi4ELi4ELi1ENSS_IJLi8ELi2EEEES1S_NSS_IJLi8ELi1ELi1ELi4EEEENSS_IJLi2ELi1ELi128ELi1EEEENSS_IJLi1ELi2ELi0ELi3EEEES1V_NSS_IJLi4ELi1ELi1ELi4EEEES1V_NSS_IJLi1ELi1ELi1ELi4EEEES1T_S1U_S1V_S1V_S1W_S1V_S1X_NSS_IJLi0ELi1ELi2ELi3ELi4ELi5EEEELi5ELi4EEEaNS5_IJPKaEEEaS8_S8_S9_NSB_INS5_IJSE_SG_SI_SG_SG_SK_SG_SM_SM_SO_SO_SQ_SG_SG_NSP_INS5_IJiNS_17integral_constantIiLi128EEEEEELb0EEENSF_INS23_IiLi4EEEEEEEENS5_IJST_SU_SV_SW_SX_SY_SZ_S10_S11_S12_S13_S14_S15_NSS_IJLi15EEEES1C_NSS_IJLi16EEEEEEENS5_IJS17_SX_SY_SZ_S18_S19_S1A_S12_S13_S15_S14_S1B_S1C_NSS_IJLi18EEEENSS_IJLi19ELi20EEEENSS_IJLi21EEEEEEENSS_IJLi18ELi19ELi20ELi21EEEElEENSB_INS5_IJSQ_SO_SO_SQ_SG_SG_S26_S28_EEENS5_IJST_SU_SV_SX_SW_SY_S18_SZ_EEENS5_IJS1I_SW_SX_S1J_S18_NSS_IJLi8EEEENSS_IJLi9ELi10EEEES12_EEENSS_IJLi8ELi9ELi10ELi11EEEElEENS5_IJNSB_INS5_IJSK_SO_SO_NSP_INS5_IJiNS23_IiLi2EEENS23_IiLi64EEEEEELb0EEES2T_EEENS5_IJST_SU_SV_SW_SX_EEENS5_IJS1I_SW_SX_NSS_IJLi5ELi6ELi7EEEENSS_IJLi8ELi9ELi10EEEEEEENSS_IJLi5ELi6ELi7ELi8ELi9ELi10EEEElEEEEES30_NS_31BlockToCTileMap_M00_N00_M01_N01ILi128ELi128ES1R_Lb0EEENS1_30ComputePtrOffsetOfStridedBatchILi1ELi1ELi1EvEELb0ELb1EEEvPKT0_S38_T1_PT2_T3_T4_T5_iT6_T7_T8_T9_T10_T11_
	.p2align	8
	.type	_ZN2ck16tensor_operation6device12_GLOBAL__N_137kernel_grouped_conv_fwd_dl_multiple_dINS_32GridwiseGemmDlMultipleD_km_kn_mnILi256EaiNS_5TupleIJaEEEaNS0_12element_wise11PassThroughES8_NS7_7AddReluELNS_25InMemoryDataOperationEnumE0ENS_16TensorDescriptorINS5_IJNS_5EmbedINS5_IJiiiEEESD_Lb0EEENS_11PassThroughIiEENS_3PadIiiiLb0EEESG_SG_NSC_INS5_IJiiEEESJ_Lb0EEESG_NS_23Merge_v2_magic_divisionISJ_EESM_NS_8RightPadIiiLb0EEESO_NS_7UnMergeISJ_Lb0EEESG_EEENS5_IJNS_8SequenceIJLi0EEEENSS_IJLi1EEEENSS_IJLi2EEEENSS_IJLi3EEEENSS_IJLi4EEEENSS_IJLi5EEEENSS_IJLi6EEEENSS_IJLi7ELi9EEEENSS_IJLi8ELi10EEEENSS_IJLi11EEEENSS_IJLi12EEEENSS_IJLi14EEEENSS_IJLi13EEEEEEENS5_IJNSS_IJLi1ELi2ELi3EEEESX_SY_SZ_NSS_IJLi7EEEENSS_IJLi8ELi9EEEENSS_IJLi10EEEES12_S13_S15_S14_NSS_IJLi15ELi16EEEENSS_IJLi17EEEEEEENSS_IJLi15ELi17ELi16EEEElEENSB_INS5_IJSQ_SO_SO_SQ_SG_EEENS5_IJST_SU_SV_SX_SW_EEENS5_IJNSS_IJLi1ELi2EEEESW_SX_NSS_IJLi5ELi6EEEES18_EEENSS_IJLi5ELi7ELi6EEEElEENSB_INS5_IJSK_SO_SO_EEENS5_IJST_SU_SV_EEENS5_IJS1I_SW_SX_EEENSS_IJLi3ELi4EEEElEELi128ELi128ELi16ELi4ELi4ELi4ELi1ENSS_IJLi8ELi2EEEES1S_NSS_IJLi8ELi1ELi1ELi4EEEENSS_IJLi2ELi1ELi128ELi1EEEENSS_IJLi1ELi2ELi0ELi3EEEES1V_NSS_IJLi4ELi1ELi1ELi4EEEES1V_NSS_IJLi1ELi1ELi1ELi4EEEES1T_S1U_S1V_S1V_S1W_S1V_S1X_NSS_IJLi0ELi1ELi2ELi3ELi4ELi5EEEELi5ELi4EEEaNS5_IJPKaEEEaS8_S8_S9_NSB_INS5_IJSE_SG_SI_SG_SG_SK_SG_SM_SM_SO_SO_SQ_SG_SG_NSP_INS5_IJiNS_17integral_constantIiLi128EEEEEELb0EEENSF_INS23_IiLi4EEEEEEEENS5_IJST_SU_SV_SW_SX_SY_SZ_S10_S11_S12_S13_S14_S15_NSS_IJLi15EEEES1C_NSS_IJLi16EEEEEEENS5_IJS17_SX_SY_SZ_S18_S19_S1A_S12_S13_S15_S14_S1B_S1C_NSS_IJLi18EEEENSS_IJLi19ELi20EEEENSS_IJLi21EEEEEEENSS_IJLi18ELi19ELi20ELi21EEEElEENSB_INS5_IJSQ_SO_SO_SQ_SG_SG_S26_S28_EEENS5_IJST_SU_SV_SX_SW_SY_S18_SZ_EEENS5_IJS1I_SW_SX_S1J_S18_NSS_IJLi8EEEENSS_IJLi9ELi10EEEES12_EEENSS_IJLi8ELi9ELi10ELi11EEEElEENS5_IJNSB_INS5_IJSK_SO_SO_NSP_INS5_IJiNS23_IiLi2EEENS23_IiLi64EEEEEELb0EEES2T_EEENS5_IJST_SU_SV_SW_SX_EEENS5_IJS1I_SW_SX_NSS_IJLi5ELi6ELi7EEEENSS_IJLi8ELi9ELi10EEEEEEENSS_IJLi5ELi6ELi7ELi8ELi9ELi10EEEElEEEEES30_NS_31BlockToCTileMap_M00_N00_M01_N01ILi128ELi128ES1R_Lb0EEENS1_30ComputePtrOffsetOfStridedBatchILi1ELi1ELi1EvEELb0ELb1EEEvPKT0_S38_T1_PT2_T3_T4_T5_iT6_T7_T8_T9_T10_T11_,@function
_ZN2ck16tensor_operation6device12_GLOBAL__N_137kernel_grouped_conv_fwd_dl_multiple_dINS_32GridwiseGemmDlMultipleD_km_kn_mnILi256EaiNS_5TupleIJaEEEaNS0_12element_wise11PassThroughES8_NS7_7AddReluELNS_25InMemoryDataOperationEnumE0ENS_16TensorDescriptorINS5_IJNS_5EmbedINS5_IJiiiEEESD_Lb0EEENS_11PassThroughIiEENS_3PadIiiiLb0EEESG_SG_NSC_INS5_IJiiEEESJ_Lb0EEESG_NS_23Merge_v2_magic_divisionISJ_EESM_NS_8RightPadIiiLb0EEESO_NS_7UnMergeISJ_Lb0EEESG_EEENS5_IJNS_8SequenceIJLi0EEEENSS_IJLi1EEEENSS_IJLi2EEEENSS_IJLi3EEEENSS_IJLi4EEEENSS_IJLi5EEEENSS_IJLi6EEEENSS_IJLi7ELi9EEEENSS_IJLi8ELi10EEEENSS_IJLi11EEEENSS_IJLi12EEEENSS_IJLi14EEEENSS_IJLi13EEEEEEENS5_IJNSS_IJLi1ELi2ELi3EEEESX_SY_SZ_NSS_IJLi7EEEENSS_IJLi8ELi9EEEENSS_IJLi10EEEES12_S13_S15_S14_NSS_IJLi15ELi16EEEENSS_IJLi17EEEEEEENSS_IJLi15ELi17ELi16EEEElEENSB_INS5_IJSQ_SO_SO_SQ_SG_EEENS5_IJST_SU_SV_SX_SW_EEENS5_IJNSS_IJLi1ELi2EEEESW_SX_NSS_IJLi5ELi6EEEES18_EEENSS_IJLi5ELi7ELi6EEEElEENSB_INS5_IJSK_SO_SO_EEENS5_IJST_SU_SV_EEENS5_IJS1I_SW_SX_EEENSS_IJLi3ELi4EEEElEELi128ELi128ELi16ELi4ELi4ELi4ELi1ENSS_IJLi8ELi2EEEES1S_NSS_IJLi8ELi1ELi1ELi4EEEENSS_IJLi2ELi1ELi128ELi1EEEENSS_IJLi1ELi2ELi0ELi3EEEES1V_NSS_IJLi4ELi1ELi1ELi4EEEES1V_NSS_IJLi1ELi1ELi1ELi4EEEES1T_S1U_S1V_S1V_S1W_S1V_S1X_NSS_IJLi0ELi1ELi2ELi3ELi4ELi5EEEELi5ELi4EEEaNS5_IJPKaEEEaS8_S8_S9_NSB_INS5_IJSE_SG_SI_SG_SG_SK_SG_SM_SM_SO_SO_SQ_SG_SG_NSP_INS5_IJiNS_17integral_constantIiLi128EEEEEELb0EEENSF_INS23_IiLi4EEEEEEEENS5_IJST_SU_SV_SW_SX_SY_SZ_S10_S11_S12_S13_S14_S15_NSS_IJLi15EEEES1C_NSS_IJLi16EEEEEEENS5_IJS17_SX_SY_SZ_S18_S19_S1A_S12_S13_S15_S14_S1B_S1C_NSS_IJLi18EEEENSS_IJLi19ELi20EEEENSS_IJLi21EEEEEEENSS_IJLi18ELi19ELi20ELi21EEEElEENSB_INS5_IJSQ_SO_SO_SQ_SG_SG_S26_S28_EEENS5_IJST_SU_SV_SX_SW_SY_S18_SZ_EEENS5_IJS1I_SW_SX_S1J_S18_NSS_IJLi8EEEENSS_IJLi9ELi10EEEES12_EEENSS_IJLi8ELi9ELi10ELi11EEEElEENS5_IJNSB_INS5_IJSK_SO_SO_NSP_INS5_IJiNS23_IiLi2EEENS23_IiLi64EEEEEELb0EEES2T_EEENS5_IJST_SU_SV_SW_SX_EEENS5_IJS1I_SW_SX_NSS_IJLi5ELi6ELi7EEEENSS_IJLi8ELi9ELi10EEEEEEENSS_IJLi5ELi6ELi7ELi8ELi9ELi10EEEElEEEEES30_NS_31BlockToCTileMap_M00_N00_M01_N01ILi128ELi128ES1R_Lb0EEENS1_30ComputePtrOffsetOfStridedBatchILi1ELi1ELi1EvEELb0ELb1EEEvPKT0_S38_T1_PT2_T3_T4_T5_iT6_T7_T8_T9_T10_T11_: ; @_ZN2ck16tensor_operation6device12_GLOBAL__N_137kernel_grouped_conv_fwd_dl_multiple_dINS_32GridwiseGemmDlMultipleD_km_kn_mnILi256EaiNS_5TupleIJaEEEaNS0_12element_wise11PassThroughES8_NS7_7AddReluELNS_25InMemoryDataOperationEnumE0ENS_16TensorDescriptorINS5_IJNS_5EmbedINS5_IJiiiEEESD_Lb0EEENS_11PassThroughIiEENS_3PadIiiiLb0EEESG_SG_NSC_INS5_IJiiEEESJ_Lb0EEESG_NS_23Merge_v2_magic_divisionISJ_EESM_NS_8RightPadIiiLb0EEESO_NS_7UnMergeISJ_Lb0EEESG_EEENS5_IJNS_8SequenceIJLi0EEEENSS_IJLi1EEEENSS_IJLi2EEEENSS_IJLi3EEEENSS_IJLi4EEEENSS_IJLi5EEEENSS_IJLi6EEEENSS_IJLi7ELi9EEEENSS_IJLi8ELi10EEEENSS_IJLi11EEEENSS_IJLi12EEEENSS_IJLi14EEEENSS_IJLi13EEEEEEENS5_IJNSS_IJLi1ELi2ELi3EEEESX_SY_SZ_NSS_IJLi7EEEENSS_IJLi8ELi9EEEENSS_IJLi10EEEES12_S13_S15_S14_NSS_IJLi15ELi16EEEENSS_IJLi17EEEEEEENSS_IJLi15ELi17ELi16EEEElEENSB_INS5_IJSQ_SO_SO_SQ_SG_EEENS5_IJST_SU_SV_SX_SW_EEENS5_IJNSS_IJLi1ELi2EEEESW_SX_NSS_IJLi5ELi6EEEES18_EEENSS_IJLi5ELi7ELi6EEEElEENSB_INS5_IJSK_SO_SO_EEENS5_IJST_SU_SV_EEENS5_IJS1I_SW_SX_EEENSS_IJLi3ELi4EEEElEELi128ELi128ELi16ELi4ELi4ELi4ELi1ENSS_IJLi8ELi2EEEES1S_NSS_IJLi8ELi1ELi1ELi4EEEENSS_IJLi2ELi1ELi128ELi1EEEENSS_IJLi1ELi2ELi0ELi3EEEES1V_NSS_IJLi4ELi1ELi1ELi4EEEES1V_NSS_IJLi1ELi1ELi1ELi4EEEES1T_S1U_S1V_S1V_S1W_S1V_S1X_NSS_IJLi0ELi1ELi2ELi3ELi4ELi5EEEELi5ELi4EEEaNS5_IJPKaEEEaS8_S8_S9_NSB_INS5_IJSE_SG_SI_SG_SG_SK_SG_SM_SM_SO_SO_SQ_SG_SG_NSP_INS5_IJiNS_17integral_constantIiLi128EEEEEELb0EEENSF_INS23_IiLi4EEEEEEEENS5_IJST_SU_SV_SW_SX_SY_SZ_S10_S11_S12_S13_S14_S15_NSS_IJLi15EEEES1C_NSS_IJLi16EEEEEEENS5_IJS17_SX_SY_SZ_S18_S19_S1A_S12_S13_S15_S14_S1B_S1C_NSS_IJLi18EEEENSS_IJLi19ELi20EEEENSS_IJLi21EEEEEEENSS_IJLi18ELi19ELi20ELi21EEEElEENSB_INS5_IJSQ_SO_SO_SQ_SG_SG_S26_S28_EEENS5_IJST_SU_SV_SX_SW_SY_S18_SZ_EEENS5_IJS1I_SW_SX_S1J_S18_NSS_IJLi8EEEENSS_IJLi9ELi10EEEES12_EEENSS_IJLi8ELi9ELi10ELi11EEEElEENS5_IJNSB_INS5_IJSK_SO_SO_NSP_INS5_IJiNS23_IiLi2EEENS23_IiLi64EEEEEELb0EEES2T_EEENS5_IJST_SU_SV_SW_SX_EEENS5_IJS1I_SW_SX_NSS_IJLi5ELi6ELi7EEEENSS_IJLi8ELi9ELi10EEEEEEENSS_IJLi5ELi6ELi7ELi8ELi9ELi10EEEElEEEEES30_NS_31BlockToCTileMap_M00_N00_M01_N01ILi128ELi128ES1R_Lb0EEENS1_30ComputePtrOffsetOfStridedBatchILi1ELi1ELi1EvEELb0ELb1EEEvPKT0_S38_T1_PT2_T3_T4_T5_iT6_T7_T8_T9_T10_T11_
; %bb.0:
	s_clause 0x4
	s_load_b32 s2, s[0:1], 0x24
	s_load_b96 s[40:42], s[0:1], 0x34
	s_load_b128 s[8:11], s[0:1], 0x234
	s_load_b128 s[28:31], s[0:1], 0x220
	s_load_b32 s35, s[0:1], 0x214
	v_lshrrev_b32_e32 v22, 1, v0
	s_mov_b32 s27, 0x31004000
	v_lshrrev_b32_e32 v31, 5, v0
	s_mov_b32 s39, s27
	v_lshlrev_b32_e32 v32, 1, v0
	s_delay_alu instid0(VALU_DEP_2) | instskip(SKIP_1) | instid1(VALU_DEP_3)
	v_lshlrev_b32_e32 v34, 6, v31
	v_lshlrev_b32_e32 v31, 3, v31
	v_and_b32_e32 v35, 0x1f8, v32
	s_delay_alu instid0(VALU_DEP_2) | instskip(NEXT) | instid1(VALU_DEP_2)
	v_and_or_b32 v114, v32, 4, v31
	v_sub_nc_u32_e32 v34, v35, v34
	s_wait_kmcnt 0x0
	s_abs_i32 s3, s2
	s_delay_alu instid0(SALU_CYCLE_1) | instskip(SKIP_2) | instid1(SALU_CYCLE_1)
	s_cvt_f32_u32 s4, s3
	s_sub_co_i32 s6, 0, s3
	v_lshlrev_b32_e32 v112, 2, v114
	v_rcp_iflag_f32_e32 v1, s4
	s_clause 0x8
	s_load_b32 s4, s[0:1], 0x288
	s_load_b32 s52, s[0:1], 0x94
	;; [unrolled: 1-line block ×9, first 2 shown]
	v_readfirstlane_b32 s5, v1
	s_mul_f32 s5, s5, 0x4f7ffffe
	s_wait_alu 0xfffe
	s_delay_alu instid0(SALU_CYCLE_2)
	s_cvt_u32_f32 s5, s5
	s_wait_kmcnt 0x0
	s_abs_i32 s7, s4
	s_xor_b32 s2, s4, s2
	s_wait_alu 0xfffe
	s_mul_i32 s6, s6, s5
	s_ashr_i32 s2, s2, 31
	s_mul_hi_u32 s6, s5, s6
	s_delay_alu instid0(SALU_CYCLE_1)
	s_add_co_i32 s5, s5, s6
	s_wait_alu 0xfffe
	s_mul_hi_u32 s5, s7, s5
	s_wait_alu 0xfffe
	s_mul_i32 s4, s5, s3
	s_add_co_i32 s6, s5, 1
	s_wait_alu 0xfffe
	s_sub_co_i32 s4, s7, s4
	s_wait_alu 0xfffe
	s_sub_co_i32 s7, s4, s3
	s_cmp_ge_u32 s4, s3
	s_cselect_b32 s5, s6, s5
	s_cselect_b32 s4, s7, s4
	s_wait_alu 0xfffe
	s_add_co_i32 s6, s5, 1
	s_cmp_ge_u32 s4, s3
	s_cselect_b32 s3, s6, s5
	s_abs_i32 s14, ttmp9
	s_xor_b32 s3, s3, s2
	s_delay_alu instid0(SALU_CYCLE_1) | instskip(NEXT) | instid1(SALU_CYCLE_1)
	s_sub_co_i32 s2, s3, s2
	s_abs_i32 s3, s2
	s_xor_b32 s2, ttmp9, s2
	s_cvt_f32_u32 s4, s3
	s_ashr_i32 s24, s2, 31
	s_wait_alu 0xfffe
	s_delay_alu instid0(SALU_CYCLE_1) | instskip(NEXT) | instid1(TRANS32_DEP_1)
	v_rcp_iflag_f32_e32 v1, s4
	v_readfirstlane_b32 s4, v1
	v_lshlrev_b32_e32 v1, 3, v0
	v_lshlrev_b32_e32 v0, 2, v0
	s_mul_f32 s4, s4, 0x4f7ffffe
	s_delay_alu instid0(VALU_DEP_2) | instskip(NEXT) | instid1(VALU_DEP_2)
	v_and_b32_e32 v20, 8, v1
	v_and_or_b32 v115, v0, 4, v34
	s_wait_alu 0xfffe
	s_cvt_u32_f32 s12, s4
	s_sub_co_i32 s4, 0, s3
	v_mul_lo_u32 v21, s33, v20
	v_lshlrev_b32_e32 v113, 2, v115
	s_wait_alu 0xfffe
	s_mul_i32 s13, s4, s12
	s_load_b128 s[4:7], s[0:1], 0x248
	s_mul_hi_u32 s13, s12, s13
	s_delay_alu instid0(SALU_CYCLE_1) | instskip(NEXT) | instid1(SALU_CYCLE_1)
	s_add_co_i32 s12, s12, s13
	s_mul_hi_u32 s12, s14, s12
	v_mul_hi_u32 v1, v21, s52
	s_mul_i32 s13, s12, s3
	s_delay_alu instid0(SALU_CYCLE_1)
	s_sub_co_i32 s2, s14, s13
	s_add_co_i32 s13, s12, 1
	s_sub_co_i32 s14, s2, s3
	s_cmp_ge_u32 s2, s3
	s_cselect_b32 s12, s13, s12
	s_cselect_b32 s2, s14, s2
	s_add_co_i32 s13, s12, 1
	s_cmp_ge_u32 s2, s3
	s_mul_hi_u32 s2, s11, ttmp9
	s_cselect_b32 s25, s13, s12
	s_add_co_i32 s2, ttmp9, s2
	s_load_b32 s3, s[0:1], 0x204
	s_wait_kmcnt 0x0
	s_lshr_b32 s7, s2, s7
	v_add_nc_u32_e32 v1, v21, v1
	s_mul_hi_u32 s2, s7, s10
	s_xor_b32 s25, s25, s24
	s_add_co_i32 s2, s7, s2
	s_sub_co_i32 s50, s25, s24
	s_lshr_b32 s6, s2, s6
	v_lshrrev_b32_e32 v2, s55, v1
	s_mul_hi_u32 s2, s6, s9
	s_ashr_i32 s51, s50, 31
	s_add_co_i32 s2, s6, s2
	s_delay_alu instid0(SALU_CYCLE_1)
	s_lshr_b32 s5, s2, s5
	v_mul_lo_u32 v1, v2, s54
	s_wait_alu 0xfffe
	s_mul_hi_u32 s2, s5, s8
	s_load_b256 s[8:15], s[0:1], 0x0
	s_add_co_i32 s2, s5, s2
	s_delay_alu instid0(SALU_CYCLE_1)
	s_lshr_b32 s2, s2, s4
	s_mul_i32 s4, s6, s30
	s_mul_i32 s2, s2, s28
	s_wait_alu 0xfffe
	s_sub_co_i32 s4, s7, s4
	s_sub_co_i32 s2, s5, s2
	s_load_b32 s28, s[0:1], 0x120
	s_mul_i32 s2, s2, s3
	v_sub_nc_u32_e32 v4, v21, v1
	s_add_co_i32 s4, s4, s2
	s_mul_i32 s5, s5, s29
	s_wait_alu 0xfffe
	s_lshl_b32 s47, s4, 7
	s_clause 0x3
	s_load_b32 s57, s[0:1], 0x48
	s_load_b64 s[2:3], s[0:1], 0x60
	s_load_b32 s4, s[0:1], 0x70
	s_load_b96 s[44:46], s[0:1], 0x44
	v_or_b32_e32 v23, s47, v22
	s_wait_kmcnt 0x0
	s_lshl_b32 s45, s33, 2
	s_clause 0x6
	s_load_b32 s26, s[0:1], 0xe8
	s_load_b32 s30, s[0:1], 0xf8
	;; [unrolled: 1-line block ×5, first 2 shown]
	s_load_b64 s[48:49], s[0:1], 0x158
	s_load_b32 s43, s[0:1], 0x164
	v_add_nc_u32_e32 v24, s45, v21
	s_mul_i32 s7, s7, s31
	v_mul_hi_u32 v3, v23, s16
	s_load_b256 s[16:23], s[0:1], 0x260
	v_mul_lo_u32 v9, v4, s42
	v_mul_hi_u32 v5, v24, s52
	v_mul_lo_u32 v17, s28, v20
	s_delay_alu instid0(VALU_DEP_4) | instskip(SKIP_2) | instid1(VALU_DEP_2)
	v_add_nc_u32_e32 v3, v23, v3
	s_lshl_b32 s60, s28, 2
	v_mul_lo_u32 v1, v2, s2
	v_lshrrev_b32_e32 v7, s34, v3
	v_add_nc_u32_e32 v3, v24, v5
	s_sub_co_i32 s44, s44, s46
	s_delay_alu instid0(VALU_DEP_2) | instskip(NEXT) | instid1(VALU_DEP_2)
	v_mul_lo_u32 v5, v7, s4
	v_lshrrev_b32_e32 v25, s55, v3
	s_sub_co_i32 s4, s6, s5
	s_sub_co_i32 s5, ttmp9, s7
	s_wait_alu 0xfffe
	s_mul_i32 s4, s4, s35
	v_mul_lo_u32 v10, v7, s40
	v_sub_nc_u32_e32 v2, v25, v2
	s_wait_alu 0xfffe
	s_add_co_i32 s6, s5, s4
	v_sub_nc_u32_e32 v3, v23, v5
	s_lshl_b32 s31, s6, 7
	v_mul_lo_u32 v8, v25, s54
	v_or_b32_e32 v26, s31, v22
	s_wait_kmcnt 0x0
	s_mul_u64 s[4:5], s[18:19], s[50:51]
	v_mad_co_u64_u32 v[18:19], null, v3, s3, v[1:2]
	s_wait_alu 0xfffe
	s_add_nc_u64 s[36:37], s[10:11], s[4:5]
	v_mul_lo_u32 v28, v2, s2
	s_and_b32 s37, s37, 0xffff
	v_sub_nc_u32_e32 v27, v24, v8
	s_mul_u64 s[4:5], s[16:17], s[50:51]
	v_or_b32_e32 v19, 16, v20
	v_mad_co_u64_u32 v[5:6], null, v26, s30, v[17:18]
	s_delay_alu instid0(VALU_DEP_3)
	v_sub_nc_u32_e32 v8, v27, v4
	v_subrev_nc_u32_e32 v6, s57, v18
	v_mul_lo_u32 v12, v28, s41
	s_wait_alu 0xfffe
	s_add_nc_u64 s[24:25], s[8:9], s[4:5]
	v_mul_lo_u32 v19, s33, v19
	v_mul_lo_u32 v13, v8, s42
	buffer_load_b128 v[1:4], v5, s[36:39], null offen
	v_mul_lo_u32 v11, v6, s41
	v_add_nc_u32_e32 v29, s60, v5
	s_and_b32 s25, s25, 0xffff
	v_lshlrev_b32_e32 v22, 2, v22
	v_cmp_gt_i32_e64 s4, s59, v17
	v_mul_hi_u32 v33, v19, s52
	buffer_load_b128 v[5:8], v29, s[36:39], null offen
	v_cmp_gt_i32_e64 s5, s56, v19
	v_add3_u32 v9, v10, v9, v11
	v_lshl_or_b32 v116, v20, 9, v22
	v_add_nc_u32_e32 v22, s45, v19
	v_add_nc_u32_e32 v17, s60, v17
	v_cmp_gt_i32_e64 s3, s56, v21
	v_add3_u32 v30, v13, v12, v9
	s_clause 0x1
	buffer_load_b128 v[9:12], v9, s[24:27], null offen
	buffer_load_b128 v[13:16], v30, s[24:27], null offen
	v_add_nc_u32_e32 v33, v19, v33
	v_mul_hi_u32 v20, v22, s52
	v_cmp_gt_i32_e64 s6, s56, v24
	s_mul_i32 s9, s28, 12
	v_cmp_gt_i32_e64 s7, s59, v17
	v_lshrrev_b32_e32 v31, s55, v33
	v_add_nc_u32_e32 v17, s9, v17
	s_clause 0x5
	s_load_b32 s40, s[0:1], 0x170
	s_load_b32 s30, s[0:1], 0x198
	s_load_b64 s[34:35], s[0:1], 0x1a8
	s_load_b32 s33, s[0:1], 0x1b4
	s_load_b32 s19, s[0:1], 0x1c0
	;; [unrolled: 1-line block ×3, first 2 shown]
	s_mul_u64 s[0:1], s[20:21], s[50:51]
	v_cmp_gt_i32_e64 s8, s56, v22
	v_mul_lo_u32 v0, v31, s54
	v_sub_nc_u32_e32 v21, v31, v25
	s_add_nc_u64 s[28:29], s[12:13], s[0:1]
	v_cmp_gt_i32_e64 s1, s59, v17
	s_mul_u64 s[10:11], s[22:23], s[50:51]
	v_cmp_gt_i32_e64 s0, s58, v26
	v_mul_lo_u32 v21, v21, s2
	s_add_nc_u64 s[16:17], s[14:15], s[10:11]
	v_sub_nc_u32_e32 v0, v19, v0
	v_add_nc_u32_e32 v19, v22, v20
	v_cmp_le_i32_e64 s10, s57, v18
	s_and_b32 s1, s1, s0
	s_wait_alu 0xfffe
	s_and_b32 s29, s29, 0xffff
	s_and_b32 s17, s17, 0xffff
	v_lshrrev_b32_e32 v19, s55, v19
	s_delay_alu instid0(VALU_DEP_1) | instskip(NEXT) | instid1(VALU_DEP_1)
	v_sub_nc_u32_e32 v24, v19, v31
	v_mul_lo_u32 v24, v24, s2
	v_cmp_gt_i32_e64 s2, s53, v23
	v_add_nc_u32_e32 v23, s9, v29
	v_cmp_gt_i32_e64 s9, s44, v18
	s_delay_alu instid0(VALU_DEP_2)
	v_add_nc_u32_e32 v25, s60, v23
	s_and_b32 s9, s9, s3
	s_wait_alu 0xfffe
	s_and_b32 s12, s9, s10
	s_wait_loadcnt 0x3
	v_mad_co_u64_u32 v[19:20], null, v19, s54, v[0:1]
	v_add_nc_u32_e32 v20, s60, v17
	v_sub_nc_u32_e32 v0, v0, v27
	s_delay_alu instid0(VALU_DEP_2) | instskip(NEXT) | instid1(VALU_DEP_4)
	v_cmp_gt_i32_e32 vcc_lo, s59, v20
	v_sub_nc_u32_e32 v17, v22, v19
	v_add_nc_u32_e32 v22, v18, v28
	v_mul_lo_u32 v19, v21, s41
	v_mul_lo_u32 v0, v0, s42
	;; [unrolled: 1-line block ×4, first 2 shown]
	v_add_nc_u32_e32 v21, v22, v21
	v_cmp_gt_i32_e64 s11, s44, v22
	v_cmp_le_i32_e64 s3, s57, v22
	s_and_b32 vcc_lo, vcc_lo, s0
	v_cmp_le_i32_e64 s10, s57, v21
	s_and_b32 s13, s11, s6
	v_cmp_gt_i32_e64 s6, s44, v21
	s_and_b32 s13, s13, s3
	v_add3_u32 v0, v0, v19, v30
	v_add_nc_u32_e32 v18, v21, v24
	s_and_b32 s3, s6, s5
	s_wait_alu 0xfffe
	s_and_b32 s5, s3, s10
	s_and_b32 s3, s4, s0
	v_add3_u32 v17, v17, v20, v0
	s_wait_alu 0xfffe
	v_cndmask_b32_e64 v4, 0, v4, s3
	v_cndmask_b32_e64 v3, 0, v3, s3
	;; [unrolled: 1-line block ×4, first 2 shown]
	s_and_b32 s3, s7, s0
	ds_store_2addr_stride64_b32 v116, v1, v2 offset0:64 offset1:66
	ds_store_2addr_stride64_b32 v116, v3, v4 offset0:68 offset1:70
	s_wait_loadcnt 0x2
	s_wait_alu 0xfffe
	v_cndmask_b32_e64 v6, 0, v6, s3
	v_cndmask_b32_e64 v5, 0, v5, s3
	;; [unrolled: 1-line block ×4, first 2 shown]
	s_and_b32 s3, s2, s12
	v_cmp_gt_i32_e64 s9, s44, v18
	ds_store_2addr_stride64_b32 v116, v5, v6 offset0:72 offset1:74
	s_wait_loadcnt 0x1
	s_wait_alu 0xfffe
	v_cndmask_b32_e64 v2, 0, v12, s3
	v_cndmask_b32_e64 v3, 0, v11, s3
	;; [unrolled: 1-line block ×4, first 2 shown]
	s_and_b32 s3, s2, s13
	v_cmp_le_i32_e64 s11, s57, v18
	s_wait_loadcnt 0x0
	s_wait_alu 0xfffe
	v_cndmask_b32_e64 v7, 0, v14, s3
	v_cndmask_b32_e64 v9, 0, v13, s3
	;; [unrolled: 1-line block ×4, first 2 shown]
	ds_store_2addr_stride64_b32 v116, v1, v8 offset0:76 offset1:78
	ds_store_2addr_stride64_b32 v116, v5, v4 offset1:2
	ds_store_2addr_stride64_b32 v116, v3, v2 offset0:4 offset1:6
	ds_store_2addr_stride64_b32 v116, v9, v7 offset0:8 offset1:10
	;; [unrolled: 1-line block ×3, first 2 shown]
	s_wait_dscnt 0x0
	s_barrier_signal -1
	s_barrier_wait -1
	s_clause 0x1
	buffer_load_b128 v[8:11], v0, s[24:27], null offen
	buffer_load_b128 v[12:15], v17, s[24:27], null offen
	s_clause 0x1
	buffer_load_b128 v[4:7], v23, s[36:39], null offen
	buffer_load_b128 v[0:3], v25, s[36:39], null offen
	ds_load_b128 v[104:107], v113 offset:16384
	ds_load_b128 v[108:111], v113 offset:16640
	ds_load_b128 v[117:120], v112
	ds_load_b128 v[121:124], v112 offset:256
	ds_load_b128 v[92:95], v113 offset:16896
	;; [unrolled: 1-line block ×25, first 2 shown]
	s_wait_dscnt 0x19
	v_dot4_i32_iu8 v133, v117, v104, 0 neg_lo:[1,1,0]
	v_dot4_i32_iu8 v134, v117, v105, 0 neg_lo:[1,1,0]
	v_dot4_i32_iu8 v135, v117, v106, 0 neg_lo:[1,1,0]
	v_dot4_i32_iu8 v136, v117, v107, 0 neg_lo:[1,1,0]
	v_dot4_i32_iu8 v137, v118, v104, 0 neg_lo:[1,1,0]
	v_dot4_i32_iu8 v138, v118, v105, 0 neg_lo:[1,1,0]
	v_dot4_i32_iu8 v139, v118, v106, 0 neg_lo:[1,1,0]
	v_dot4_i32_iu8 v140, v118, v107, 0 neg_lo:[1,1,0]
	v_dot4_i32_iu8 v141, v119, v104, 0 neg_lo:[1,1,0]
	v_dot4_i32_iu8 v142, v119, v105, 0 neg_lo:[1,1,0]
	v_dot4_i32_iu8 v143, v119, v106, 0 neg_lo:[1,1,0]
	v_dot4_i32_iu8 v144, v119, v107, 0 neg_lo:[1,1,0]
	v_dot4_i32_iu8 v145, v120, v104, 0 neg_lo:[1,1,0]
	v_dot4_i32_iu8 v146, v120, v105, 0 neg_lo:[1,1,0]
	v_dot4_i32_iu8 v147, v120, v106, 0 neg_lo:[1,1,0]
	v_dot4_i32_iu8 v148, v120, v107, 0 neg_lo:[1,1,0]
	v_dot4_i32_iu8 v149, v117, v108, 0 neg_lo:[1,1,0]
	v_dot4_i32_iu8 v150, v117, v109, 0 neg_lo:[1,1,0]
	v_dot4_i32_iu8 v151, v117, v110, 0 neg_lo:[1,1,0]
	v_dot4_i32_iu8 v117, v117, v111, 0 neg_lo:[1,1,0]
	v_dot4_i32_iu8 v152, v118, v108, 0 neg_lo:[1,1,0]
	v_dot4_i32_iu8 v153, v118, v109, 0 neg_lo:[1,1,0]
	v_dot4_i32_iu8 v154, v118, v110, 0 neg_lo:[1,1,0]
	v_dot4_i32_iu8 v118, v118, v111, 0 neg_lo:[1,1,0]
	v_dot4_i32_iu8 v155, v119, v108, 0 neg_lo:[1,1,0]
	v_dot4_i32_iu8 v156, v119, v109, 0 neg_lo:[1,1,0]
	v_dot4_i32_iu8 v157, v119, v110, 0 neg_lo:[1,1,0]
	v_dot4_i32_iu8 v119, v119, v111, 0 neg_lo:[1,1,0]
	v_dot4_i32_iu8 v158, v120, v108, 0 neg_lo:[1,1,0]
	v_dot4_i32_iu8 v159, v120, v109, 0 neg_lo:[1,1,0]
	v_dot4_i32_iu8 v160, v120, v110, 0 neg_lo:[1,1,0]
	v_dot4_i32_iu8 v120, v120, v111, 0 neg_lo:[1,1,0]
	s_wait_dscnt 0x18
	v_dot4_i32_iu8 v161, v121, v104, 0 neg_lo:[1,1,0]
	v_dot4_i32_iu8 v162, v121, v105, 0 neg_lo:[1,1,0]
	v_dot4_i32_iu8 v163, v121, v106, 0 neg_lo:[1,1,0]
	v_dot4_i32_iu8 v164, v121, v107, 0 neg_lo:[1,1,0]
	v_dot4_i32_iu8 v165, v122, v104, 0 neg_lo:[1,1,0]
	v_dot4_i32_iu8 v166, v122, v105, 0 neg_lo:[1,1,0]
	v_dot4_i32_iu8 v167, v122, v106, 0 neg_lo:[1,1,0]
	v_dot4_i32_iu8 v168, v122, v107, 0 neg_lo:[1,1,0]
	v_dot4_i32_iu8 v169, v123, v104, 0 neg_lo:[1,1,0]
	v_dot4_i32_iu8 v170, v123, v105, 0 neg_lo:[1,1,0]
	v_dot4_i32_iu8 v171, v123, v106, 0 neg_lo:[1,1,0]
	v_dot4_i32_iu8 v172, v123, v107, 0 neg_lo:[1,1,0]
	v_dot4_i32_iu8 v173, v124, v104, 0 neg_lo:[1,1,0]
	v_dot4_i32_iu8 v174, v124, v105, 0 neg_lo:[1,1,0]
	v_dot4_i32_iu8 v175, v124, v106, 0 neg_lo:[1,1,0]
	v_dot4_i32_iu8 v176, v124, v107, 0 neg_lo:[1,1,0]
	v_dot4_i32_iu8 v177, v121, v108, 0 neg_lo:[1,1,0]
	v_dot4_i32_iu8 v178, v121, v109, 0 neg_lo:[1,1,0]
	v_dot4_i32_iu8 v179, v121, v110, 0 neg_lo:[1,1,0]
	v_dot4_i32_iu8 v121, v121, v111, 0 neg_lo:[1,1,0]
	v_dot4_i32_iu8 v180, v122, v108, 0 neg_lo:[1,1,0]
	v_dot4_i32_iu8 v181, v122, v109, 0 neg_lo:[1,1,0]
	v_dot4_i32_iu8 v182, v122, v110, 0 neg_lo:[1,1,0]
	v_dot4_i32_iu8 v122, v122, v111, 0 neg_lo:[1,1,0]
	v_dot4_i32_iu8 v183, v123, v108, 0 neg_lo:[1,1,0]
	v_dot4_i32_iu8 v184, v123, v109, 0 neg_lo:[1,1,0]
	v_dot4_i32_iu8 v185, v123, v110, 0 neg_lo:[1,1,0]
	v_dot4_i32_iu8 v123, v123, v111, 0 neg_lo:[1,1,0]
	v_dot4_i32_iu8 v186, v124, v108, 0 neg_lo:[1,1,0]
	v_dot4_i32_iu8 v187, v124, v109, 0 neg_lo:[1,1,0]
	v_dot4_i32_iu8 v188, v124, v110, 0 neg_lo:[1,1,0]
	v_dot4_i32_iu8 v124, v124, v111, 0 neg_lo:[1,1,0]
	;; [unrolled: 33-line block ×5, first 2 shown]
	s_wait_dscnt 0x10
	v_dot4_i32_iu8 v128, v72, v64, v128 neg_lo:[1,1,0]
	v_dot4_i32_iu8 v158, v72, v65, v158 neg_lo:[1,1,0]
	v_dot4_i32_iu8 v159, v72, v66, v159 neg_lo:[1,1,0]
	v_dot4_i32_iu8 v160, v72, v67, v160 neg_lo:[1,1,0]
	v_dot4_i32_iu8 v161, v73, v64, v161 neg_lo:[1,1,0]
	v_dot4_i32_iu8 v162, v73, v65, v162 neg_lo:[1,1,0]
	v_dot4_i32_iu8 v163, v73, v66, v163 neg_lo:[1,1,0]
	v_dot4_i32_iu8 v164, v73, v67, v164 neg_lo:[1,1,0]
	v_dot4_i32_iu8 v165, v74, v64, v165 neg_lo:[1,1,0]
	v_dot4_i32_iu8 v166, v74, v65, v166 neg_lo:[1,1,0]
	v_dot4_i32_iu8 v167, v74, v66, v167 neg_lo:[1,1,0]
	v_dot4_i32_iu8 v168, v74, v67, v168 neg_lo:[1,1,0]
	v_dot4_i32_iu8 v169, v75, v64, v169 neg_lo:[1,1,0]
	v_dot4_i32_iu8 v170, v75, v65, v170 neg_lo:[1,1,0]
	v_dot4_i32_iu8 v171, v75, v66, v171 neg_lo:[1,1,0]
	v_dot4_i32_iu8 v172, v75, v67, v172 neg_lo:[1,1,0]
	v_dot4_i32_iu8 v173, v72, v68, v173 neg_lo:[1,1,0]
	v_dot4_i32_iu8 v174, v72, v69, v174 neg_lo:[1,1,0]
	v_dot4_i32_iu8 v175, v72, v70, v175 neg_lo:[1,1,0]
	v_dot4_i32_iu8 v121, v72, v71, v121 neg_lo:[1,1,0]
	v_dot4_i32_iu8 v176, v73, v68, v176 neg_lo:[1,1,0]
	v_dot4_i32_iu8 v177, v73, v69, v177 neg_lo:[1,1,0]
	v_dot4_i32_iu8 v178, v73, v70, v178 neg_lo:[1,1,0]
	v_dot4_i32_iu8 v122, v73, v71, v122 neg_lo:[1,1,0]
	v_dot4_i32_iu8 v179, v74, v68, v179 neg_lo:[1,1,0]
	v_dot4_i32_iu8 v180, v74, v69, v180 neg_lo:[1,1,0]
	v_dot4_i32_iu8 v181, v74, v70, v181 neg_lo:[1,1,0]
	v_dot4_i32_iu8 v123, v74, v71, v123 neg_lo:[1,1,0]
	v_dot4_i32_iu8 v182, v75, v68, v182 neg_lo:[1,1,0]
	v_dot4_i32_iu8 v183, v75, v69, v183 neg_lo:[1,1,0]
	ds_load_b128 v[104:107], v113 offset:19968
	ds_load_b128 v[108:111], v113 offset:20224
	;; [unrolled: 1-line block ×4, first 2 shown]
	v_dot4_i32_iu8 v184, v75, v70, v184 neg_lo:[1,1,0]
	v_dot4_i32_iu8 v124, v75, v71, v124 neg_lo:[1,1,0]
	s_wait_dscnt 0x11
	v_dot4_i32_iu8 v133, v76, v16, v133 neg_lo:[1,1,0]
	v_dot4_i32_iu8 v134, v76, v17, v134 neg_lo:[1,1,0]
	;; [unrolled: 1-line block ×32, first 2 shown]
	s_wait_dscnt 0x10
	v_dot4_i32_iu8 v128, v24, v16, v128 neg_lo:[1,1,0]
	v_dot4_i32_iu8 v132, v24, v17, v158 neg_lo:[1,1,0]
	;; [unrolled: 1-line block ×30, first 2 shown]
	ds_load_b128 v[100:103], v113 offset:20480
	ds_load_b128 v[117:120], v113 offset:20736
	v_dot4_i32_iu8 v22, v27, v22, v184 neg_lo:[1,1,0]
	v_dot4_i32_iu8 v23, v27, v23, v124 neg_lo:[1,1,0]
	s_wait_dscnt 0xf
	v_dot4_i32_iu8 v27, v80, v28, v133 neg_lo:[1,1,0]
	v_dot4_i32_iu8 v123, v80, v29, v134 neg_lo:[1,1,0]
	;; [unrolled: 1-line block ×32, first 2 shown]
	s_wait_dscnt 0xe
	v_dot4_i32_iu8 v83, v36, v28, v128 neg_lo:[1,1,0]
	v_dot4_i32_iu8 v128, v36, v29, v132 neg_lo:[1,1,0]
	;; [unrolled: 1-line block ×30, first 2 shown]
	ds_load_b128 v[64:67], v112 offset:4096
	ds_load_b128 v[68:71], v112 offset:4352
	;; [unrolled: 1-line block ×3, first 2 shown]
	v_dot4_i32_iu8 v22, v39, v34, v22 neg_lo:[1,1,0]
	v_dot4_i32_iu8 v23, v39, v35, v23 neg_lo:[1,1,0]
	s_wait_dscnt 0xe
	v_dot4_i32_iu8 v27, v84, v40, v27 neg_lo:[1,1,0]
	v_dot4_i32_iu8 v32, v84, v41, v123 neg_lo:[1,1,0]
	v_dot4_i32_iu8 v33, v84, v42, v124 neg_lo:[1,1,0]
	v_dot4_i32_iu8 v34, v84, v43, v133 neg_lo:[1,1,0]
	v_dot4_i32_iu8 v35, v85, v40, v134 neg_lo:[1,1,0]
	v_dot4_i32_iu8 v38, v85, v41, v135 neg_lo:[1,1,0]
	v_dot4_i32_iu8 v39, v85, v42, v136 neg_lo:[1,1,0]
	v_dot4_i32_iu8 v123, v85, v43, v137 neg_lo:[1,1,0]
	v_dot4_i32_iu8 v124, v86, v40, v138 neg_lo:[1,1,0]
	v_dot4_i32_iu8 v133, v86, v41, v139 neg_lo:[1,1,0]
	v_dot4_i32_iu8 v134, v86, v42, v140 neg_lo:[1,1,0]
	v_dot4_i32_iu8 v135, v86, v43, v141 neg_lo:[1,1,0]
	v_dot4_i32_iu8 v136, v87, v40, v142 neg_lo:[1,1,0]
	v_dot4_i32_iu8 v137, v87, v41, v143 neg_lo:[1,1,0]
	v_dot4_i32_iu8 v138, v87, v42, v144 neg_lo:[1,1,0]
	v_dot4_i32_iu8 v139, v87, v43, v145 neg_lo:[1,1,0]
	v_dot4_i32_iu8 v140, v84, v44, v146 neg_lo:[1,1,0]
	v_dot4_i32_iu8 v141, v84, v45, v147 neg_lo:[1,1,0]
	v_dot4_i32_iu8 v142, v84, v46, v148 neg_lo:[1,1,0]
	v_dot4_i32_iu8 v76, v84, v47, v76 neg_lo:[1,1,0]
	v_dot4_i32_iu8 v80, v85, v44, v80 neg_lo:[1,1,0]
	v_dot4_i32_iu8 v84, v85, v45, v125 neg_lo:[1,1,0]
	v_dot4_i32_iu8 v125, v85, v46, v129 neg_lo:[1,1,0]
	v_dot4_i32_iu8 v77, v85, v47, v77 neg_lo:[1,1,0]
	v_dot4_i32_iu8 v81, v86, v44, v81 neg_lo:[1,1,0]
	v_dot4_i32_iu8 v85, v86, v45, v126 neg_lo:[1,1,0]
	v_dot4_i32_iu8 v126, v86, v46, v130 neg_lo:[1,1,0]
	v_dot4_i32_iu8 v78, v86, v47, v78 neg_lo:[1,1,0]
	v_dot4_i32_iu8 v82, v87, v44, v82 neg_lo:[1,1,0]
	v_dot4_i32_iu8 v86, v87, v45, v127 neg_lo:[1,1,0]
	v_dot4_i32_iu8 v127, v87, v46, v131 neg_lo:[1,1,0]
	v_dot4_i32_iu8 v79, v87, v47, v79 neg_lo:[1,1,0]
	s_wait_dscnt 0xd
	v_dot4_i32_iu8 v83, v48, v40, v83 neg_lo:[1,1,0]
	v_dot4_i32_iu8 v87, v48, v41, v128 neg_lo:[1,1,0]
	v_dot4_i32_iu8 v128, v48, v42, v132 neg_lo:[1,1,0]
	v_dot4_i32_iu8 v129, v48, v43, v149 neg_lo:[1,1,0]
	v_dot4_i32_iu8 v130, v49, v40, v150 neg_lo:[1,1,0]
	v_dot4_i32_iu8 v131, v49, v41, v151 neg_lo:[1,1,0]
	v_dot4_i32_iu8 v132, v49, v42, v152 neg_lo:[1,1,0]
	v_dot4_i32_iu8 v143, v49, v43, v153 neg_lo:[1,1,0]
	v_dot4_i32_iu8 v144, v50, v40, v154 neg_lo:[1,1,0]
	v_dot4_i32_iu8 v145, v50, v41, v155 neg_lo:[1,1,0]
	v_dot4_i32_iu8 v146, v50, v42, v156 neg_lo:[1,1,0]
	v_dot4_i32_iu8 v147, v50, v43, v157 neg_lo:[1,1,0]
	v_dot4_i32_iu8 v16, v51, v40, v16 neg_lo:[1,1,0]
	v_dot4_i32_iu8 v17, v51, v41, v17 neg_lo:[1,1,0]
	v_dot4_i32_iu8 v18, v51, v42, v18 neg_lo:[1,1,0]
	v_dot4_i32_iu8 v19, v51, v43, v19 neg_lo:[1,1,0]
	v_dot4_i32_iu8 v28, v48, v44, v28 neg_lo:[1,1,0]
	v_dot4_i32_iu8 v29, v48, v45, v29 neg_lo:[1,1,0]
	v_dot4_i32_iu8 v30, v48, v46, v30 neg_lo:[1,1,0]
	v_dot4_i32_iu8 v24, v48, v47, v24 neg_lo:[1,1,0]
	v_dot4_i32_iu8 v31, v49, v44, v31 neg_lo:[1,1,0]
	v_dot4_i32_iu8 v36, v49, v45, v36 neg_lo:[1,1,0]
	v_dot4_i32_iu8 v40, v49, v46, v121 neg_lo:[1,1,0]
	v_dot4_i32_iu8 v25, v49, v47, v25 neg_lo:[1,1,0]
	v_dot4_i32_iu8 v37, v50, v44, v37 neg_lo:[1,1,0]
	v_dot4_i32_iu8 v41, v50, v45, v122 neg_lo:[1,1,0]
	v_dot4_i32_iu8 v42, v50, v46, v158 neg_lo:[1,1,0]
	v_dot4_i32_iu8 v26, v50, v47, v26 neg_lo:[1,1,0]
	v_dot4_i32_iu8 v20, v51, v44, v20 neg_lo:[1,1,0]
	v_dot4_i32_iu8 v21, v51, v45, v21 neg_lo:[1,1,0]
	;; [unrolled: 33-line block ×7, first 2 shown]
	v_dot4_i32_iu8 v66, v67, v119, v78 neg_lo:[1,1,0]
	v_dot4_i32_iu8 v67, v67, v120, v79 neg_lo:[1,1,0]
	s_wait_dscnt 0x1
	v_dot4_i32_iu8 v76, v68, v100, v80 neg_lo:[1,1,0]
	v_dot4_i32_iu8 v77, v68, v101, v81 neg_lo:[1,1,0]
	;; [unrolled: 1-line block ×15, first 2 shown]
	ds_load_b128 v[16:19], v113 offset:20992
	v_dot4_i32_iu8 v91, v71, v103, v92 neg_lo:[1,1,0]
	v_dot4_i32_iu8 v92, v68, v117, v28 neg_lo:[1,1,0]
	v_dot4_i32_iu8 v96, v68, v118, v29 neg_lo:[1,1,0]
	v_dot4_i32_iu8 v97, v68, v119, v30 neg_lo:[1,1,0]
	v_dot4_i32_iu8 v68, v68, v120, v24 neg_lo:[1,1,0]
	v_dot4_i32_iu8 v98, v69, v117, v31 neg_lo:[1,1,0]
	v_dot4_i32_iu8 v36, v69, v118, v36 neg_lo:[1,1,0]
	v_dot4_i32_iu8 v40, v69, v119, v40 neg_lo:[1,1,0]
	v_dot4_i32_iu8 v69, v69, v120, v25 neg_lo:[1,1,0]
	v_dot4_i32_iu8 v37, v70, v117, v37 neg_lo:[1,1,0]
	v_dot4_i32_iu8 v41, v70, v118, v41 neg_lo:[1,1,0]
	v_dot4_i32_iu8 v42, v70, v119, v42 neg_lo:[1,1,0]
	v_dot4_i32_iu8 v70, v70, v120, v26 neg_lo:[1,1,0]
	v_dot4_i32_iu8 v99, v71, v117, v20 neg_lo:[1,1,0]
	v_dot4_i32_iu8 v100, v71, v118, v21 neg_lo:[1,1,0]
	ds_load_b128 v[20:23], v113 offset:21248
	ds_load_b128 v[24:27], v112 offset:4864
	;; [unrolled: 1-line block ×3, first 2 shown]
	v_dot4_i32_iu8 v93, v71, v119, v93 neg_lo:[1,1,0]
	v_dot4_i32_iu8 v71, v71, v120, v94 neg_lo:[1,1,0]
	s_wait_dscnt 0x3
	v_dot4_i32_iu8 v94, v72, v16, v95 neg_lo:[1,1,0]
	v_dot4_i32_iu8 v95, v72, v17, v32 neg_lo:[1,1,0]
	v_dot4_i32_iu8 v101, v72, v18, v33 neg_lo:[1,1,0]
	v_dot4_i32_iu8 v102, v72, v19, v34 neg_lo:[1,1,0]
	v_dot4_i32_iu8 v103, v73, v16, v35 neg_lo:[1,1,0]
	v_dot4_i32_iu8 v38, v73, v17, v38 neg_lo:[1,1,0]
	v_dot4_i32_iu8 v39, v73, v18, v39 neg_lo:[1,1,0]
	v_dot4_i32_iu8 v43, v73, v19, v43 neg_lo:[1,1,0]
	v_dot4_i32_iu8 v44, v74, v16, v44 neg_lo:[1,1,0]
	v_dot4_i32_iu8 v45, v74, v17, v45 neg_lo:[1,1,0]
	v_dot4_i32_iu8 v46, v74, v18, v46 neg_lo:[1,1,0]
	v_dot4_i32_iu8 v47, v74, v19, v47 neg_lo:[1,1,0]
	v_dot4_i32_iu8 v48, v75, v16, v48 neg_lo:[1,1,0]
	v_dot4_i32_iu8 v49, v75, v17, v49 neg_lo:[1,1,0]
	v_dot4_i32_iu8 v50, v75, v18, v50 neg_lo:[1,1,0]
	v_dot4_i32_iu8 v51, v75, v19, v51 neg_lo:[1,1,0]
	s_wait_dscnt 0x2
	v_dot4_i32_iu8 v52, v72, v20, v52 neg_lo:[1,1,0]
	v_dot4_i32_iu8 v53, v72, v21, v53 neg_lo:[1,1,0]
	v_dot4_i32_iu8 v54, v72, v22, v54 neg_lo:[1,1,0]
	v_dot4_i32_iu8 v55, v72, v23, v55 neg_lo:[1,1,0]
	v_dot4_i32_iu8 v56, v73, v20, v56 neg_lo:[1,1,0]
	v_dot4_i32_iu8 v57, v73, v21, v57 neg_lo:[1,1,0]
	v_dot4_i32_iu8 v58, v73, v22, v58 neg_lo:[1,1,0]
	v_dot4_i32_iu8 v59, v73, v23, v59 neg_lo:[1,1,0]
	v_dot4_i32_iu8 v60, v74, v20, v60 neg_lo:[1,1,0]
	v_dot4_i32_iu8 v61, v74, v21, v61 neg_lo:[1,1,0]
	v_dot4_i32_iu8 v62, v74, v22, v62 neg_lo:[1,1,0]
	v_dot4_i32_iu8 v63, v74, v23, v63 neg_lo:[1,1,0]
	v_dot4_i32_iu8 v64, v75, v20, v64 neg_lo:[1,1,0]
	v_dot4_i32_iu8 v65, v75, v21, v65 neg_lo:[1,1,0]
	;; [unrolled: 17-line block ×3, first 2 shown]
	v_dot4_i32_iu8 v86, v27, v18, v90 neg_lo:[1,1,0]
	ds_load_b128 v[32:35], v113 offset:21504
	v_dot4_i32_iu8 v87, v27, v19, v91 neg_lo:[1,1,0]
	v_dot4_i32_iu8 v88, v24, v20, v92 neg_lo:[1,1,0]
	;; [unrolled: 1-line block ×15, first 2 shown]
	ds_load_b128 v[16:19], v113 offset:21760
	v_dot4_i32_iu8 v93, v27, v22, v93 neg_lo:[1,1,0]
	v_dot4_i32_iu8 v71, v27, v23, v71 neg_lo:[1,1,0]
	ds_load_b128 v[20:23], v112 offset:5376
	ds_load_b128 v[24:27], v112 offset:5632
	s_wait_dscnt 0x3
	v_dot4_i32_iu8 v94, v28, v32, v94 neg_lo:[1,1,0]
	v_dot4_i32_iu8 v95, v28, v33, v95 neg_lo:[1,1,0]
	;; [unrolled: 1-line block ×16, first 2 shown]
	s_wait_dscnt 0x2
	v_dot4_i32_iu8 v52, v28, v16, v52 neg_lo:[1,1,0]
	v_dot4_i32_iu8 v53, v28, v17, v53 neg_lo:[1,1,0]
	;; [unrolled: 1-line block ×16, first 2 shown]
	s_wait_dscnt 0x1
	v_dot4_i32_iu8 v72, v20, v32, v72 neg_lo:[1,1,0]
	v_dot4_i32_iu8 v73, v20, v33, v73 neg_lo:[1,1,0]
	;; [unrolled: 1-line block ×15, first 2 shown]
	ds_load_b128 v[28:31], v113 offset:22016
	v_dot4_i32_iu8 v87, v23, v35, v87 neg_lo:[1,1,0]
	v_dot4_i32_iu8 v88, v20, v16, v88 neg_lo:[1,1,0]
	;; [unrolled: 1-line block ×15, first 2 shown]
	ds_load_b128 v[32:35], v113 offset:22272
	v_dot4_i32_iu8 v93, v23, v18, v93 neg_lo:[1,1,0]
	v_dot4_i32_iu8 v71, v23, v19, v71 neg_lo:[1,1,0]
	ds_load_b128 v[16:19], v112 offset:5888
	ds_load_b128 v[20:23], v112 offset:6144
	s_wait_dscnt 0x3
	v_dot4_i32_iu8 v94, v24, v28, v94 neg_lo:[1,1,0]
	v_dot4_i32_iu8 v95, v24, v29, v95 neg_lo:[1,1,0]
	;; [unrolled: 1-line block ×16, first 2 shown]
	s_wait_dscnt 0x2
	v_dot4_i32_iu8 v52, v24, v32, v52 neg_lo:[1,1,0]
	v_dot4_i32_iu8 v53, v24, v33, v53 neg_lo:[1,1,0]
	v_dot4_i32_iu8 v54, v24, v34, v54 neg_lo:[1,1,0]
	v_dot4_i32_iu8 v55, v24, v35, v55 neg_lo:[1,1,0]
	v_dot4_i32_iu8 v56, v25, v32, v56 neg_lo:[1,1,0]
	v_dot4_i32_iu8 v57, v25, v33, v57 neg_lo:[1,1,0]
	v_dot4_i32_iu8 v58, v25, v34, v58 neg_lo:[1,1,0]
	v_dot4_i32_iu8 v59, v25, v35, v59 neg_lo:[1,1,0]
	v_dot4_i32_iu8 v60, v26, v32, v60 neg_lo:[1,1,0]
	v_dot4_i32_iu8 v61, v26, v33, v61 neg_lo:[1,1,0]
	v_dot4_i32_iu8 v62, v26, v34, v62 neg_lo:[1,1,0]
	v_dot4_i32_iu8 v63, v26, v35, v63 neg_lo:[1,1,0]
	v_dot4_i32_iu8 v64, v27, v32, v64 neg_lo:[1,1,0]
	v_dot4_i32_iu8 v65, v27, v33, v65 neg_lo:[1,1,0]
	v_dot4_i32_iu8 v66, v27, v34, v66 neg_lo:[1,1,0]
	v_dot4_i32_iu8 v67, v27, v35, v67 neg_lo:[1,1,0]
	s_wait_dscnt 0x1
	v_dot4_i32_iu8 v72, v16, v28, v72 neg_lo:[1,1,0]
	v_dot4_i32_iu8 v73, v16, v29, v73 neg_lo:[1,1,0]
	;; [unrolled: 1-line block ×15, first 2 shown]
	ds_load_b128 v[24:27], v113 offset:22528
	v_dot4_i32_iu8 v87, v19, v31, v87 neg_lo:[1,1,0]
	v_dot4_i32_iu8 v88, v16, v32, v88 neg_lo:[1,1,0]
	;; [unrolled: 1-line block ×15, first 2 shown]
	ds_load_b128 v[28:31], v113 offset:22784
	v_dot4_i32_iu8 v93, v19, v34, v93 neg_lo:[1,1,0]
	v_dot4_i32_iu8 v71, v19, v35, v71 neg_lo:[1,1,0]
	ds_load_b128 v[16:19], v112 offset:6400
	s_wait_dscnt 0x2
	v_dot4_i32_iu8 v94, v20, v24, v94 neg_lo:[1,1,0]
	v_dot4_i32_iu8 v95, v20, v25, v95 neg_lo:[1,1,0]
	;; [unrolled: 1-line block ×16, first 2 shown]
	s_wait_dscnt 0x1
	v_dot4_i32_iu8 v52, v20, v28, v52 neg_lo:[1,1,0]
	v_dot4_i32_iu8 v53, v20, v29, v53 neg_lo:[1,1,0]
	;; [unrolled: 1-line block ×16, first 2 shown]
	ds_load_b128 v[20:23], v112 offset:6656
	s_wait_dscnt 0x1
	v_dot4_i32_iu8 v72, v16, v24, v72 neg_lo:[1,1,0]
	v_dot4_i32_iu8 v73, v16, v25, v73 neg_lo:[1,1,0]
	;; [unrolled: 1-line block ×15, first 2 shown]
	ds_load_b128 v[32:35], v113 offset:23040
	v_dot4_i32_iu8 v87, v19, v27, v87 neg_lo:[1,1,0]
	v_dot4_i32_iu8 v88, v16, v28, v88 neg_lo:[1,1,0]
	;; [unrolled: 1-line block ×15, first 2 shown]
	ds_load_b128 v[24:27], v113 offset:23296
	v_dot4_i32_iu8 v93, v19, v30, v93 neg_lo:[1,1,0]
	v_dot4_i32_iu8 v71, v19, v31, v71 neg_lo:[1,1,0]
	ds_load_b128 v[16:19], v112 offset:6912
	s_wait_dscnt 0x2
	v_dot4_i32_iu8 v94, v20, v32, v94 neg_lo:[1,1,0]
	v_dot4_i32_iu8 v95, v20, v33, v95 neg_lo:[1,1,0]
	;; [unrolled: 1-line block ×16, first 2 shown]
	s_wait_dscnt 0x1
	v_dot4_i32_iu8 v52, v20, v24, v52 neg_lo:[1,1,0]
	v_dot4_i32_iu8 v53, v20, v25, v53 neg_lo:[1,1,0]
	;; [unrolled: 1-line block ×16, first 2 shown]
	ds_load_b128 v[20:23], v112 offset:7168
	s_wait_dscnt 0x1
	v_dot4_i32_iu8 v72, v16, v32, v72 neg_lo:[1,1,0]
	v_dot4_i32_iu8 v73, v16, v33, v73 neg_lo:[1,1,0]
	v_dot4_i32_iu8 v74, v16, v34, v74 neg_lo:[1,1,0]
	v_dot4_i32_iu8 v75, v16, v35, v75 neg_lo:[1,1,0]
	v_dot4_i32_iu8 v76, v17, v32, v76 neg_lo:[1,1,0]
	v_dot4_i32_iu8 v77, v17, v33, v77 neg_lo:[1,1,0]
	v_dot4_i32_iu8 v78, v17, v34, v78 neg_lo:[1,1,0]
	v_dot4_i32_iu8 v79, v17, v35, v79 neg_lo:[1,1,0]
	v_dot4_i32_iu8 v80, v18, v32, v80 neg_lo:[1,1,0]
	v_dot4_i32_iu8 v81, v18, v33, v81 neg_lo:[1,1,0]
	v_dot4_i32_iu8 v82, v18, v34, v82 neg_lo:[1,1,0]
	v_dot4_i32_iu8 v83, v18, v35, v83 neg_lo:[1,1,0]
	v_dot4_i32_iu8 v84, v19, v32, v84 neg_lo:[1,1,0]
	v_dot4_i32_iu8 v85, v19, v33, v85 neg_lo:[1,1,0]
	v_dot4_i32_iu8 v86, v19, v34, v86 neg_lo:[1,1,0]
	ds_load_b128 v[28:31], v113 offset:23552
	v_dot4_i32_iu8 v87, v19, v35, v87 neg_lo:[1,1,0]
	v_dot4_i32_iu8 v88, v16, v24, v88 neg_lo:[1,1,0]
	;; [unrolled: 1-line block ×15, first 2 shown]
	ds_load_b128 v[32:35], v113 offset:23808
	v_dot4_i32_iu8 v93, v19, v26, v93 neg_lo:[1,1,0]
	v_dot4_i32_iu8 v71, v19, v27, v71 neg_lo:[1,1,0]
	ds_load_b128 v[16:19], v112 offset:7424
	s_and_b32 s6, s9, s8
	s_wait_dscnt 0x2
	v_dot4_i32_iu8 v94, v20, v28, v94 neg_lo:[1,1,0]
	s_and_b32 s6, s6, s11
	v_dot4_i32_iu8 v95, v20, v29, v95 neg_lo:[1,1,0]
	s_and_b32 s3, s2, s6
	s_and_b32 s2, s2, s5
	s_wait_loadcnt 0x2
	s_wait_alu 0xfffe
	v_cndmask_b32_e64 v15, 0, v15, s3
	v_cndmask_b32_e64 v14, 0, v14, s3
	v_dot4_i32_iu8 v97, v20, v30, v97 neg_lo:[1,1,0]
	v_dot4_i32_iu8 v98, v20, v31, v98 neg_lo:[1,1,0]
	;; [unrolled: 1-line block ×14, first 2 shown]
	s_wait_dscnt 0x1
	v_dot4_i32_iu8 v52, v20, v32, v52 neg_lo:[1,1,0]
	v_dot4_i32_iu8 v53, v20, v33, v53 neg_lo:[1,1,0]
	;; [unrolled: 1-line block ×16, first 2 shown]
	ds_load_b128 v[20:23], v112 offset:7680
	s_wait_dscnt 0x1
	v_dot4_i32_iu8 v72, v16, v28, v72 neg_lo:[1,1,0]
	v_dot4_i32_iu8 v73, v16, v29, v73 neg_lo:[1,1,0]
	;; [unrolled: 1-line block ×15, first 2 shown]
	ds_load_b128 v[24:27], v113 offset:24064
	v_dot4_i32_iu8 v87, v19, v31, v87 neg_lo:[1,1,0]
	v_dot4_i32_iu8 v88, v16, v32, v88 neg_lo:[1,1,0]
	;; [unrolled: 1-line block ×15, first 2 shown]
	ds_load_b128 v[28:31], v113 offset:24320
	v_dot4_i32_iu8 v34, v19, v34, v93 neg_lo:[1,1,0]
	v_dot4_i32_iu8 v35, v19, v35, v71 neg_lo:[1,1,0]
	ds_load_b128 v[16:19], v112 offset:7936
	v_cndmask_b32_e64 v9, 0, v9, s2
	v_cndmask_b32_e64 v8, 0, v8, s2
	;; [unrolled: 1-line block ×4, first 2 shown]
	s_wait_loadcnt 0x1
	v_cndmask_b32_e64 v5, 0, v5, s1
	v_cndmask_b32_e64 v4, 0, v4, s1
	v_cndmask_b32_e64 v13, 0, v13, s3
	v_cndmask_b32_e64 v12, 0, v12, s3
	v_cndmask_b32_e64 v7, 0, v7, s1
	v_cndmask_b32_e64 v6, 0, v6, s1
	s_wait_loadcnt 0x0
	v_dual_cndmask_b32 v1, 0, v1 :: v_dual_cndmask_b32 v0, 0, v0
	v_dual_cndmask_b32 v3, 0, v3 :: v_dual_cndmask_b32 v2, 0, v2
	ds_store_2addr_stride64_b32 v116, v8, v9 offset0:32 offset1:34
	ds_store_2addr_stride64_b32 v116, v10, v11 offset0:36 offset1:38
	;; [unrolled: 1-line block ×8, first 2 shown]
	s_wait_dscnt 0x0
	s_barrier_signal -1
	s_barrier_wait -1
	ds_load_b128 v[0:3], v112 offset:8192
	ds_load_b128 v[4:7], v113 offset:24576
	;; [unrolled: 1-line block ×4, first 2 shown]
	v_dot4_i32_iu8 v71, v20, v24, v94 neg_lo:[1,1,0]
	v_dot4_i32_iu8 v92, v20, v25, v95 neg_lo:[1,1,0]
	;; [unrolled: 1-line block ×64, first 2 shown]
	s_wait_dscnt 0x2
	v_dot4_i32_iu8 v32, v0, v4, v71 neg_lo:[1,1,0]
	v_dot4_i32_iu8 v33, v0, v5, v92 neg_lo:[1,1,0]
	;; [unrolled: 1-line block ×16, first 2 shown]
	ds_load_b128 v[16:19], v113 offset:25088
	s_wait_dscnt 0x2
	v_dot4_i32_iu8 v52, v0, v8, v52 neg_lo:[1,1,0]
	v_dot4_i32_iu8 v53, v0, v9, v53 neg_lo:[1,1,0]
	;; [unrolled: 1-line block ×16, first 2 shown]
	ds_load_b128 v[0:3], v112 offset:8704
	s_wait_dscnt 0x2
	v_dot4_i32_iu8 v64, v12, v4, v64 neg_lo:[1,1,0]
	v_dot4_i32_iu8 v65, v12, v5, v65 neg_lo:[1,1,0]
	;; [unrolled: 1-line block ×30, first 2 shown]
	ds_load_b128 v[4:7], v113 offset:25344
	v_dot4_i32_iu8 v30, v15, v10, v30 neg_lo:[1,1,0]
	v_dot4_i32_iu8 v31, v15, v11, v31 neg_lo:[1,1,0]
	ds_load_b128 v[8:11], v112 offset:8960
	s_wait_dscnt 0x2
	v_dot4_i32_iu8 v32, v0, v16, v32 neg_lo:[1,1,0]
	v_dot4_i32_iu8 v33, v0, v17, v33 neg_lo:[1,1,0]
	v_dot4_i32_iu8 v34, v0, v18, v34 neg_lo:[1,1,0]
	v_dot4_i32_iu8 v35, v0, v19, v35 neg_lo:[1,1,0]
	v_dot4_i32_iu8 v71, v1, v16, v71 neg_lo:[1,1,0]
	v_dot4_i32_iu8 v38, v1, v17, v38 neg_lo:[1,1,0]
	v_dot4_i32_iu8 v39, v1, v18, v39 neg_lo:[1,1,0]
	v_dot4_i32_iu8 v43, v1, v19, v43 neg_lo:[1,1,0]
	v_dot4_i32_iu8 v44, v2, v16, v44 neg_lo:[1,1,0]
	v_dot4_i32_iu8 v45, v2, v17, v45 neg_lo:[1,1,0]
	v_dot4_i32_iu8 v46, v2, v18, v46 neg_lo:[1,1,0]
	v_dot4_i32_iu8 v47, v2, v19, v47 neg_lo:[1,1,0]
	v_dot4_i32_iu8 v48, v3, v16, v48 neg_lo:[1,1,0]
	v_dot4_i32_iu8 v49, v3, v17, v49 neg_lo:[1,1,0]
	v_dot4_i32_iu8 v50, v3, v18, v50 neg_lo:[1,1,0]
	v_dot4_i32_iu8 v51, v3, v19, v51 neg_lo:[1,1,0]
	ds_load_b128 v[12:15], v113 offset:25600
	s_wait_dscnt 0x2
	v_dot4_i32_iu8 v52, v0, v4, v52 neg_lo:[1,1,0]
	v_dot4_i32_iu8 v53, v0, v5, v53 neg_lo:[1,1,0]
	v_dot4_i32_iu8 v54, v0, v6, v54 neg_lo:[1,1,0]
	v_dot4_i32_iu8 v20, v0, v7, v20 neg_lo:[1,1,0]
	v_dot4_i32_iu8 v55, v1, v4, v55 neg_lo:[1,1,0]
	v_dot4_i32_iu8 v56, v1, v5, v56 neg_lo:[1,1,0]
	v_dot4_i32_iu8 v57, v1, v6, v57 neg_lo:[1,1,0]
	v_dot4_i32_iu8 v21, v1, v7, v21 neg_lo:[1,1,0]
	v_dot4_i32_iu8 v58, v2, v4, v58 neg_lo:[1,1,0]
	v_dot4_i32_iu8 v59, v2, v5, v59 neg_lo:[1,1,0]
	v_dot4_i32_iu8 v60, v2, v6, v60 neg_lo:[1,1,0]
	v_dot4_i32_iu8 v22, v2, v7, v22 neg_lo:[1,1,0]
	v_dot4_i32_iu8 v61, v3, v4, v61 neg_lo:[1,1,0]
	v_dot4_i32_iu8 v62, v3, v5, v62 neg_lo:[1,1,0]
	;; [unrolled: 18-line block ×3, first 2 shown]
	v_dot4_i32_iu8 v26, v11, v18, v26 neg_lo:[1,1,0]
	v_dot4_i32_iu8 v27, v11, v19, v27 neg_lo:[1,1,0]
	;; [unrolled: 1-line block ×16, first 2 shown]
	ds_load_b128 v[16:19], v113 offset:25856
	v_dot4_i32_iu8 v30, v11, v6, v30 neg_lo:[1,1,0]
	v_dot4_i32_iu8 v31, v11, v7, v31 neg_lo:[1,1,0]
	ds_load_b128 v[4:7], v112 offset:9472
	s_wait_dscnt 0x2
	v_dot4_i32_iu8 v32, v0, v12, v32 neg_lo:[1,1,0]
	v_dot4_i32_iu8 v33, v0, v13, v33 neg_lo:[1,1,0]
	v_dot4_i32_iu8 v34, v0, v14, v34 neg_lo:[1,1,0]
	v_dot4_i32_iu8 v35, v0, v15, v35 neg_lo:[1,1,0]
	v_dot4_i32_iu8 v71, v1, v12, v71 neg_lo:[1,1,0]
	v_dot4_i32_iu8 v38, v1, v13, v38 neg_lo:[1,1,0]
	v_dot4_i32_iu8 v39, v1, v14, v39 neg_lo:[1,1,0]
	v_dot4_i32_iu8 v43, v1, v15, v43 neg_lo:[1,1,0]
	v_dot4_i32_iu8 v44, v2, v12, v44 neg_lo:[1,1,0]
	v_dot4_i32_iu8 v45, v2, v13, v45 neg_lo:[1,1,0]
	v_dot4_i32_iu8 v46, v2, v14, v46 neg_lo:[1,1,0]
	v_dot4_i32_iu8 v47, v2, v15, v47 neg_lo:[1,1,0]
	v_dot4_i32_iu8 v48, v3, v12, v48 neg_lo:[1,1,0]
	v_dot4_i32_iu8 v49, v3, v13, v49 neg_lo:[1,1,0]
	v_dot4_i32_iu8 v50, v3, v14, v50 neg_lo:[1,1,0]
	v_dot4_i32_iu8 v51, v3, v15, v51 neg_lo:[1,1,0]
	ds_load_b128 v[8:11], v113 offset:26112
	s_wait_dscnt 0x2
	v_dot4_i32_iu8 v52, v0, v16, v52 neg_lo:[1,1,0]
	v_dot4_i32_iu8 v53, v0, v17, v53 neg_lo:[1,1,0]
	v_dot4_i32_iu8 v54, v0, v18, v54 neg_lo:[1,1,0]
	v_dot4_i32_iu8 v20, v0, v19, v20 neg_lo:[1,1,0]
	v_dot4_i32_iu8 v55, v1, v16, v55 neg_lo:[1,1,0]
	v_dot4_i32_iu8 v56, v1, v17, v56 neg_lo:[1,1,0]
	v_dot4_i32_iu8 v57, v1, v18, v57 neg_lo:[1,1,0]
	v_dot4_i32_iu8 v21, v1, v19, v21 neg_lo:[1,1,0]
	v_dot4_i32_iu8 v58, v2, v16, v58 neg_lo:[1,1,0]
	v_dot4_i32_iu8 v59, v2, v17, v59 neg_lo:[1,1,0]
	v_dot4_i32_iu8 v60, v2, v18, v60 neg_lo:[1,1,0]
	v_dot4_i32_iu8 v22, v2, v19, v22 neg_lo:[1,1,0]
	v_dot4_i32_iu8 v61, v3, v16, v61 neg_lo:[1,1,0]
	v_dot4_i32_iu8 v62, v3, v17, v62 neg_lo:[1,1,0]
	v_dot4_i32_iu8 v63, v3, v18, v63 neg_lo:[1,1,0]
	v_dot4_i32_iu8 v23, v3, v19, v23 neg_lo:[1,1,0]
	ds_load_b128 v[0:3], v112 offset:9728
	s_wait_dscnt 0x2
	v_dot4_i32_iu8 v64, v4, v12, v64 neg_lo:[1,1,0]
	v_dot4_i32_iu8 v65, v4, v13, v65 neg_lo:[1,1,0]
	v_dot4_i32_iu8 v66, v4, v14, v66 neg_lo:[1,1,0]
	v_dot4_i32_iu8 v67, v4, v15, v67 neg_lo:[1,1,0]
	v_dot4_i32_iu8 v72, v5, v12, v72 neg_lo:[1,1,0]
	v_dot4_i32_iu8 v73, v5, v13, v73 neg_lo:[1,1,0]
	v_dot4_i32_iu8 v74, v5, v14, v74 neg_lo:[1,1,0]
	v_dot4_i32_iu8 v75, v5, v15, v75 neg_lo:[1,1,0]
	v_dot4_i32_iu8 v76, v6, v12, v76 neg_lo:[1,1,0]
	v_dot4_i32_iu8 v77, v6, v13, v77 neg_lo:[1,1,0]
	v_dot4_i32_iu8 v78, v6, v14, v78 neg_lo:[1,1,0]
	v_dot4_i32_iu8 v79, v6, v15, v79 neg_lo:[1,1,0]
	v_dot4_i32_iu8 v24, v7, v12, v24 neg_lo:[1,1,0]
	v_dot4_i32_iu8 v25, v7, v13, v25 neg_lo:[1,1,0]
	v_dot4_i32_iu8 v26, v7, v14, v26 neg_lo:[1,1,0]
	v_dot4_i32_iu8 v27, v7, v15, v27 neg_lo:[1,1,0]
	;; [unrolled: 1-line block ×16, first 2 shown]
	ds_load_b128 v[12:15], v113 offset:26368
	v_dot4_i32_iu8 v30, v7, v18, v30 neg_lo:[1,1,0]
	v_dot4_i32_iu8 v31, v7, v19, v31 neg_lo:[1,1,0]
	ds_load_b128 v[4:7], v112 offset:9984
	s_wait_dscnt 0x2
	v_dot4_i32_iu8 v32, v0, v8, v32 neg_lo:[1,1,0]
	v_dot4_i32_iu8 v33, v0, v9, v33 neg_lo:[1,1,0]
	v_dot4_i32_iu8 v34, v0, v10, v34 neg_lo:[1,1,0]
	v_dot4_i32_iu8 v35, v0, v11, v35 neg_lo:[1,1,0]
	v_dot4_i32_iu8 v71, v1, v8, v71 neg_lo:[1,1,0]
	v_dot4_i32_iu8 v38, v1, v9, v38 neg_lo:[1,1,0]
	v_dot4_i32_iu8 v39, v1, v10, v39 neg_lo:[1,1,0]
	v_dot4_i32_iu8 v43, v1, v11, v43 neg_lo:[1,1,0]
	v_dot4_i32_iu8 v44, v2, v8, v44 neg_lo:[1,1,0]
	v_dot4_i32_iu8 v45, v2, v9, v45 neg_lo:[1,1,0]
	v_dot4_i32_iu8 v46, v2, v10, v46 neg_lo:[1,1,0]
	v_dot4_i32_iu8 v47, v2, v11, v47 neg_lo:[1,1,0]
	v_dot4_i32_iu8 v48, v3, v8, v48 neg_lo:[1,1,0]
	v_dot4_i32_iu8 v49, v3, v9, v49 neg_lo:[1,1,0]
	v_dot4_i32_iu8 v50, v3, v10, v50 neg_lo:[1,1,0]
	v_dot4_i32_iu8 v51, v3, v11, v51 neg_lo:[1,1,0]
	ds_load_b128 v[16:19], v113 offset:26624
	s_wait_dscnt 0x2
	v_dot4_i32_iu8 v52, v0, v12, v52 neg_lo:[1,1,0]
	v_dot4_i32_iu8 v53, v0, v13, v53 neg_lo:[1,1,0]
	v_dot4_i32_iu8 v54, v0, v14, v54 neg_lo:[1,1,0]
	v_dot4_i32_iu8 v20, v0, v15, v20 neg_lo:[1,1,0]
	v_dot4_i32_iu8 v55, v1, v12, v55 neg_lo:[1,1,0]
	v_dot4_i32_iu8 v56, v1, v13, v56 neg_lo:[1,1,0]
	v_dot4_i32_iu8 v57, v1, v14, v57 neg_lo:[1,1,0]
	v_dot4_i32_iu8 v21, v1, v15, v21 neg_lo:[1,1,0]
	v_dot4_i32_iu8 v58, v2, v12, v58 neg_lo:[1,1,0]
	v_dot4_i32_iu8 v59, v2, v13, v59 neg_lo:[1,1,0]
	v_dot4_i32_iu8 v60, v2, v14, v60 neg_lo:[1,1,0]
	v_dot4_i32_iu8 v22, v2, v15, v22 neg_lo:[1,1,0]
	v_dot4_i32_iu8 v61, v3, v12, v61 neg_lo:[1,1,0]
	v_dot4_i32_iu8 v62, v3, v13, v62 neg_lo:[1,1,0]
	;; [unrolled: 18-line block ×3, first 2 shown]
	v_dot4_i32_iu8 v26, v7, v10, v26 neg_lo:[1,1,0]
	v_dot4_i32_iu8 v27, v7, v11, v27 neg_lo:[1,1,0]
	;; [unrolled: 1-line block ×16, first 2 shown]
	ds_load_b128 v[8:11], v113 offset:26880
	v_dot4_i32_iu8 v30, v7, v14, v30 neg_lo:[1,1,0]
	v_dot4_i32_iu8 v31, v7, v15, v31 neg_lo:[1,1,0]
	ds_load_b128 v[4:7], v112 offset:10496
	s_wait_dscnt 0x2
	v_dot4_i32_iu8 v32, v0, v16, v32 neg_lo:[1,1,0]
	v_dot4_i32_iu8 v33, v0, v17, v33 neg_lo:[1,1,0]
	v_dot4_i32_iu8 v34, v0, v18, v34 neg_lo:[1,1,0]
	v_dot4_i32_iu8 v35, v0, v19, v35 neg_lo:[1,1,0]
	v_dot4_i32_iu8 v71, v1, v16, v71 neg_lo:[1,1,0]
	v_dot4_i32_iu8 v38, v1, v17, v38 neg_lo:[1,1,0]
	v_dot4_i32_iu8 v39, v1, v18, v39 neg_lo:[1,1,0]
	v_dot4_i32_iu8 v43, v1, v19, v43 neg_lo:[1,1,0]
	v_dot4_i32_iu8 v44, v2, v16, v44 neg_lo:[1,1,0]
	v_dot4_i32_iu8 v45, v2, v17, v45 neg_lo:[1,1,0]
	v_dot4_i32_iu8 v46, v2, v18, v46 neg_lo:[1,1,0]
	v_dot4_i32_iu8 v47, v2, v19, v47 neg_lo:[1,1,0]
	v_dot4_i32_iu8 v48, v3, v16, v48 neg_lo:[1,1,0]
	v_dot4_i32_iu8 v49, v3, v17, v49 neg_lo:[1,1,0]
	v_dot4_i32_iu8 v50, v3, v18, v50 neg_lo:[1,1,0]
	v_dot4_i32_iu8 v51, v3, v19, v51 neg_lo:[1,1,0]
	ds_load_b128 v[12:15], v113 offset:27136
	s_wait_dscnt 0x2
	v_dot4_i32_iu8 v52, v0, v8, v52 neg_lo:[1,1,0]
	v_dot4_i32_iu8 v53, v0, v9, v53 neg_lo:[1,1,0]
	v_dot4_i32_iu8 v54, v0, v10, v54 neg_lo:[1,1,0]
	v_dot4_i32_iu8 v20, v0, v11, v20 neg_lo:[1,1,0]
	v_dot4_i32_iu8 v55, v1, v8, v55 neg_lo:[1,1,0]
	v_dot4_i32_iu8 v56, v1, v9, v56 neg_lo:[1,1,0]
	v_dot4_i32_iu8 v57, v1, v10, v57 neg_lo:[1,1,0]
	v_dot4_i32_iu8 v21, v1, v11, v21 neg_lo:[1,1,0]
	v_dot4_i32_iu8 v58, v2, v8, v58 neg_lo:[1,1,0]
	v_dot4_i32_iu8 v59, v2, v9, v59 neg_lo:[1,1,0]
	v_dot4_i32_iu8 v60, v2, v10, v60 neg_lo:[1,1,0]
	v_dot4_i32_iu8 v22, v2, v11, v22 neg_lo:[1,1,0]
	v_dot4_i32_iu8 v61, v3, v8, v61 neg_lo:[1,1,0]
	v_dot4_i32_iu8 v62, v3, v9, v62 neg_lo:[1,1,0]
	v_dot4_i32_iu8 v63, v3, v10, v63 neg_lo:[1,1,0]
	v_dot4_i32_iu8 v23, v3, v11, v23 neg_lo:[1,1,0]
	ds_load_b128 v[0:3], v112 offset:10752
	s_wait_dscnt 0x2
	v_dot4_i32_iu8 v64, v4, v16, v64 neg_lo:[1,1,0]
	v_dot4_i32_iu8 v65, v4, v17, v65 neg_lo:[1,1,0]
	v_dot4_i32_iu8 v66, v4, v18, v66 neg_lo:[1,1,0]
	v_dot4_i32_iu8 v67, v4, v19, v67 neg_lo:[1,1,0]
	v_dot4_i32_iu8 v72, v5, v16, v72 neg_lo:[1,1,0]
	v_dot4_i32_iu8 v73, v5, v17, v73 neg_lo:[1,1,0]
	v_dot4_i32_iu8 v74, v5, v18, v74 neg_lo:[1,1,0]
	v_dot4_i32_iu8 v75, v5, v19, v75 neg_lo:[1,1,0]
	v_dot4_i32_iu8 v76, v6, v16, v76 neg_lo:[1,1,0]
	v_dot4_i32_iu8 v77, v6, v17, v77 neg_lo:[1,1,0]
	v_dot4_i32_iu8 v78, v6, v18, v78 neg_lo:[1,1,0]
	v_dot4_i32_iu8 v79, v6, v19, v79 neg_lo:[1,1,0]
	v_dot4_i32_iu8 v24, v7, v16, v24 neg_lo:[1,1,0]
	v_dot4_i32_iu8 v25, v7, v17, v25 neg_lo:[1,1,0]
	v_dot4_i32_iu8 v26, v7, v18, v26 neg_lo:[1,1,0]
	v_dot4_i32_iu8 v27, v7, v19, v27 neg_lo:[1,1,0]
	;; [unrolled: 1-line block ×16, first 2 shown]
	ds_load_b128 v[16:19], v113 offset:27392
	v_dot4_i32_iu8 v30, v7, v10, v30 neg_lo:[1,1,0]
	v_dot4_i32_iu8 v31, v7, v11, v31 neg_lo:[1,1,0]
	ds_load_b128 v[4:7], v112 offset:11008
	s_wait_dscnt 0x2
	v_dot4_i32_iu8 v32, v0, v12, v32 neg_lo:[1,1,0]
	v_dot4_i32_iu8 v33, v0, v13, v33 neg_lo:[1,1,0]
	v_dot4_i32_iu8 v34, v0, v14, v34 neg_lo:[1,1,0]
	v_dot4_i32_iu8 v35, v0, v15, v35 neg_lo:[1,1,0]
	v_dot4_i32_iu8 v71, v1, v12, v71 neg_lo:[1,1,0]
	v_dot4_i32_iu8 v38, v1, v13, v38 neg_lo:[1,1,0]
	v_dot4_i32_iu8 v39, v1, v14, v39 neg_lo:[1,1,0]
	v_dot4_i32_iu8 v43, v1, v15, v43 neg_lo:[1,1,0]
	v_dot4_i32_iu8 v44, v2, v12, v44 neg_lo:[1,1,0]
	v_dot4_i32_iu8 v45, v2, v13, v45 neg_lo:[1,1,0]
	v_dot4_i32_iu8 v46, v2, v14, v46 neg_lo:[1,1,0]
	v_dot4_i32_iu8 v47, v2, v15, v47 neg_lo:[1,1,0]
	v_dot4_i32_iu8 v48, v3, v12, v48 neg_lo:[1,1,0]
	v_dot4_i32_iu8 v49, v3, v13, v49 neg_lo:[1,1,0]
	v_dot4_i32_iu8 v50, v3, v14, v50 neg_lo:[1,1,0]
	v_dot4_i32_iu8 v51, v3, v15, v51 neg_lo:[1,1,0]
	ds_load_b128 v[8:11], v113 offset:27648
	s_wait_dscnt 0x2
	v_dot4_i32_iu8 v52, v0, v16, v52 neg_lo:[1,1,0]
	v_dot4_i32_iu8 v53, v0, v17, v53 neg_lo:[1,1,0]
	v_dot4_i32_iu8 v54, v0, v18, v54 neg_lo:[1,1,0]
	v_dot4_i32_iu8 v20, v0, v19, v20 neg_lo:[1,1,0]
	v_dot4_i32_iu8 v55, v1, v16, v55 neg_lo:[1,1,0]
	v_dot4_i32_iu8 v56, v1, v17, v56 neg_lo:[1,1,0]
	v_dot4_i32_iu8 v57, v1, v18, v57 neg_lo:[1,1,0]
	v_dot4_i32_iu8 v21, v1, v19, v21 neg_lo:[1,1,0]
	v_dot4_i32_iu8 v58, v2, v16, v58 neg_lo:[1,1,0]
	v_dot4_i32_iu8 v59, v2, v17, v59 neg_lo:[1,1,0]
	v_dot4_i32_iu8 v60, v2, v18, v60 neg_lo:[1,1,0]
	v_dot4_i32_iu8 v22, v2, v19, v22 neg_lo:[1,1,0]
	v_dot4_i32_iu8 v61, v3, v16, v61 neg_lo:[1,1,0]
	v_dot4_i32_iu8 v62, v3, v17, v62 neg_lo:[1,1,0]
	;; [unrolled: 18-line block ×3, first 2 shown]
	v_dot4_i32_iu8 v26, v7, v14, v26 neg_lo:[1,1,0]
	v_dot4_i32_iu8 v27, v7, v15, v27 neg_lo:[1,1,0]
	;; [unrolled: 1-line block ×16, first 2 shown]
	ds_load_b128 v[12:15], v113 offset:27904
	v_dot4_i32_iu8 v30, v7, v18, v30 neg_lo:[1,1,0]
	v_dot4_i32_iu8 v31, v7, v19, v31 neg_lo:[1,1,0]
	ds_load_b128 v[4:7], v112 offset:11520
	s_wait_dscnt 0x2
	v_dot4_i32_iu8 v32, v0, v8, v32 neg_lo:[1,1,0]
	v_dot4_i32_iu8 v33, v0, v9, v33 neg_lo:[1,1,0]
	v_dot4_i32_iu8 v34, v0, v10, v34 neg_lo:[1,1,0]
	v_dot4_i32_iu8 v35, v0, v11, v35 neg_lo:[1,1,0]
	v_dot4_i32_iu8 v71, v1, v8, v71 neg_lo:[1,1,0]
	v_dot4_i32_iu8 v38, v1, v9, v38 neg_lo:[1,1,0]
	v_dot4_i32_iu8 v39, v1, v10, v39 neg_lo:[1,1,0]
	v_dot4_i32_iu8 v43, v1, v11, v43 neg_lo:[1,1,0]
	v_dot4_i32_iu8 v44, v2, v8, v44 neg_lo:[1,1,0]
	v_dot4_i32_iu8 v45, v2, v9, v45 neg_lo:[1,1,0]
	v_dot4_i32_iu8 v46, v2, v10, v46 neg_lo:[1,1,0]
	v_dot4_i32_iu8 v47, v2, v11, v47 neg_lo:[1,1,0]
	v_dot4_i32_iu8 v48, v3, v8, v48 neg_lo:[1,1,0]
	v_dot4_i32_iu8 v49, v3, v9, v49 neg_lo:[1,1,0]
	v_dot4_i32_iu8 v50, v3, v10, v50 neg_lo:[1,1,0]
	v_dot4_i32_iu8 v51, v3, v11, v51 neg_lo:[1,1,0]
	ds_load_b128 v[16:19], v113 offset:28160
	s_wait_dscnt 0x2
	v_dot4_i32_iu8 v52, v0, v12, v52 neg_lo:[1,1,0]
	v_dot4_i32_iu8 v53, v0, v13, v53 neg_lo:[1,1,0]
	v_dot4_i32_iu8 v54, v0, v14, v54 neg_lo:[1,1,0]
	v_dot4_i32_iu8 v20, v0, v15, v20 neg_lo:[1,1,0]
	v_dot4_i32_iu8 v55, v1, v12, v55 neg_lo:[1,1,0]
	v_dot4_i32_iu8 v56, v1, v13, v56 neg_lo:[1,1,0]
	v_dot4_i32_iu8 v57, v1, v14, v57 neg_lo:[1,1,0]
	v_dot4_i32_iu8 v21, v1, v15, v21 neg_lo:[1,1,0]
	v_dot4_i32_iu8 v58, v2, v12, v58 neg_lo:[1,1,0]
	v_dot4_i32_iu8 v59, v2, v13, v59 neg_lo:[1,1,0]
	v_dot4_i32_iu8 v60, v2, v14, v60 neg_lo:[1,1,0]
	v_dot4_i32_iu8 v22, v2, v15, v22 neg_lo:[1,1,0]
	v_dot4_i32_iu8 v61, v3, v12, v61 neg_lo:[1,1,0]
	v_dot4_i32_iu8 v62, v3, v13, v62 neg_lo:[1,1,0]
	;; [unrolled: 18-line block ×3, first 2 shown]
	v_dot4_i32_iu8 v26, v7, v10, v26 neg_lo:[1,1,0]
	v_dot4_i32_iu8 v27, v7, v11, v27 neg_lo:[1,1,0]
	;; [unrolled: 1-line block ×16, first 2 shown]
	ds_load_b128 v[8:11], v113 offset:28416
	v_dot4_i32_iu8 v30, v7, v14, v30 neg_lo:[1,1,0]
	v_dot4_i32_iu8 v31, v7, v15, v31 neg_lo:[1,1,0]
	ds_load_b128 v[4:7], v112 offset:12032
	s_wait_dscnt 0x2
	v_dot4_i32_iu8 v32, v0, v16, v32 neg_lo:[1,1,0]
	v_dot4_i32_iu8 v33, v0, v17, v33 neg_lo:[1,1,0]
	v_dot4_i32_iu8 v34, v0, v18, v34 neg_lo:[1,1,0]
	v_dot4_i32_iu8 v35, v0, v19, v35 neg_lo:[1,1,0]
	v_dot4_i32_iu8 v71, v1, v16, v71 neg_lo:[1,1,0]
	v_dot4_i32_iu8 v38, v1, v17, v38 neg_lo:[1,1,0]
	v_dot4_i32_iu8 v39, v1, v18, v39 neg_lo:[1,1,0]
	v_dot4_i32_iu8 v43, v1, v19, v43 neg_lo:[1,1,0]
	v_dot4_i32_iu8 v44, v2, v16, v44 neg_lo:[1,1,0]
	v_dot4_i32_iu8 v45, v2, v17, v45 neg_lo:[1,1,0]
	v_dot4_i32_iu8 v46, v2, v18, v46 neg_lo:[1,1,0]
	v_dot4_i32_iu8 v47, v2, v19, v47 neg_lo:[1,1,0]
	v_dot4_i32_iu8 v48, v3, v16, v48 neg_lo:[1,1,0]
	v_dot4_i32_iu8 v49, v3, v17, v49 neg_lo:[1,1,0]
	v_dot4_i32_iu8 v50, v3, v18, v50 neg_lo:[1,1,0]
	v_dot4_i32_iu8 v51, v3, v19, v51 neg_lo:[1,1,0]
	ds_load_b128 v[12:15], v113 offset:28672
	s_wait_dscnt 0x2
	v_dot4_i32_iu8 v52, v0, v8, v52 neg_lo:[1,1,0]
	v_dot4_i32_iu8 v53, v0, v9, v53 neg_lo:[1,1,0]
	v_dot4_i32_iu8 v54, v0, v10, v54 neg_lo:[1,1,0]
	v_dot4_i32_iu8 v20, v0, v11, v20 neg_lo:[1,1,0]
	v_dot4_i32_iu8 v55, v1, v8, v55 neg_lo:[1,1,0]
	v_dot4_i32_iu8 v56, v1, v9, v56 neg_lo:[1,1,0]
	v_dot4_i32_iu8 v57, v1, v10, v57 neg_lo:[1,1,0]
	v_dot4_i32_iu8 v21, v1, v11, v21 neg_lo:[1,1,0]
	v_dot4_i32_iu8 v58, v2, v8, v58 neg_lo:[1,1,0]
	v_dot4_i32_iu8 v59, v2, v9, v59 neg_lo:[1,1,0]
	v_dot4_i32_iu8 v60, v2, v10, v60 neg_lo:[1,1,0]
	v_dot4_i32_iu8 v22, v2, v11, v22 neg_lo:[1,1,0]
	v_dot4_i32_iu8 v61, v3, v8, v61 neg_lo:[1,1,0]
	v_dot4_i32_iu8 v62, v3, v9, v62 neg_lo:[1,1,0]
	;; [unrolled: 18-line block ×3, first 2 shown]
	v_dot4_i32_iu8 v26, v7, v18, v26 neg_lo:[1,1,0]
	v_dot4_i32_iu8 v27, v7, v19, v27 neg_lo:[1,1,0]
	;; [unrolled: 1-line block ×16, first 2 shown]
	ds_load_b128 v[16:19], v113 offset:28928
	v_dot4_i32_iu8 v30, v7, v10, v30 neg_lo:[1,1,0]
	v_dot4_i32_iu8 v31, v7, v11, v31 neg_lo:[1,1,0]
	ds_load_b128 v[4:7], v112 offset:12544
	s_wait_dscnt 0x2
	v_dot4_i32_iu8 v32, v0, v12, v32 neg_lo:[1,1,0]
	v_dot4_i32_iu8 v33, v0, v13, v33 neg_lo:[1,1,0]
	v_dot4_i32_iu8 v34, v0, v14, v34 neg_lo:[1,1,0]
	v_dot4_i32_iu8 v35, v0, v15, v35 neg_lo:[1,1,0]
	v_dot4_i32_iu8 v71, v1, v12, v71 neg_lo:[1,1,0]
	v_dot4_i32_iu8 v38, v1, v13, v38 neg_lo:[1,1,0]
	v_dot4_i32_iu8 v39, v1, v14, v39 neg_lo:[1,1,0]
	v_dot4_i32_iu8 v43, v1, v15, v43 neg_lo:[1,1,0]
	v_dot4_i32_iu8 v44, v2, v12, v44 neg_lo:[1,1,0]
	v_dot4_i32_iu8 v45, v2, v13, v45 neg_lo:[1,1,0]
	v_dot4_i32_iu8 v46, v2, v14, v46 neg_lo:[1,1,0]
	v_dot4_i32_iu8 v47, v2, v15, v47 neg_lo:[1,1,0]
	v_dot4_i32_iu8 v48, v3, v12, v48 neg_lo:[1,1,0]
	v_dot4_i32_iu8 v49, v3, v13, v49 neg_lo:[1,1,0]
	v_dot4_i32_iu8 v50, v3, v14, v50 neg_lo:[1,1,0]
	v_dot4_i32_iu8 v51, v3, v15, v51 neg_lo:[1,1,0]
	ds_load_b128 v[8:11], v113 offset:29184
	s_wait_dscnt 0x2
	v_dot4_i32_iu8 v52, v0, v16, v52 neg_lo:[1,1,0]
	v_dot4_i32_iu8 v53, v0, v17, v53 neg_lo:[1,1,0]
	v_dot4_i32_iu8 v54, v0, v18, v54 neg_lo:[1,1,0]
	v_dot4_i32_iu8 v20, v0, v19, v20 neg_lo:[1,1,0]
	v_dot4_i32_iu8 v55, v1, v16, v55 neg_lo:[1,1,0]
	v_dot4_i32_iu8 v56, v1, v17, v56 neg_lo:[1,1,0]
	v_dot4_i32_iu8 v57, v1, v18, v57 neg_lo:[1,1,0]
	v_dot4_i32_iu8 v21, v1, v19, v21 neg_lo:[1,1,0]
	v_dot4_i32_iu8 v58, v2, v16, v58 neg_lo:[1,1,0]
	v_dot4_i32_iu8 v59, v2, v17, v59 neg_lo:[1,1,0]
	v_dot4_i32_iu8 v60, v2, v18, v60 neg_lo:[1,1,0]
	v_dot4_i32_iu8 v22, v2, v19, v22 neg_lo:[1,1,0]
	v_dot4_i32_iu8 v61, v3, v16, v61 neg_lo:[1,1,0]
	v_dot4_i32_iu8 v62, v3, v17, v62 neg_lo:[1,1,0]
	;; [unrolled: 18-line block ×3, first 2 shown]
	v_dot4_i32_iu8 v26, v7, v14, v26 neg_lo:[1,1,0]
	v_dot4_i32_iu8 v27, v7, v15, v27 neg_lo:[1,1,0]
	;; [unrolled: 1-line block ×16, first 2 shown]
	ds_load_b128 v[12:15], v113 offset:29440
	v_dot4_i32_iu8 v30, v7, v18, v30 neg_lo:[1,1,0]
	v_dot4_i32_iu8 v31, v7, v19, v31 neg_lo:[1,1,0]
	ds_load_b128 v[4:7], v112 offset:13056
	s_wait_dscnt 0x2
	v_dot4_i32_iu8 v32, v0, v8, v32 neg_lo:[1,1,0]
	v_dot4_i32_iu8 v33, v0, v9, v33 neg_lo:[1,1,0]
	v_dot4_i32_iu8 v34, v0, v10, v34 neg_lo:[1,1,0]
	v_dot4_i32_iu8 v35, v0, v11, v35 neg_lo:[1,1,0]
	v_dot4_i32_iu8 v71, v1, v8, v71 neg_lo:[1,1,0]
	v_dot4_i32_iu8 v38, v1, v9, v38 neg_lo:[1,1,0]
	v_dot4_i32_iu8 v39, v1, v10, v39 neg_lo:[1,1,0]
	v_dot4_i32_iu8 v43, v1, v11, v43 neg_lo:[1,1,0]
	v_dot4_i32_iu8 v44, v2, v8, v44 neg_lo:[1,1,0]
	v_dot4_i32_iu8 v45, v2, v9, v45 neg_lo:[1,1,0]
	v_dot4_i32_iu8 v46, v2, v10, v46 neg_lo:[1,1,0]
	v_dot4_i32_iu8 v47, v2, v11, v47 neg_lo:[1,1,0]
	v_dot4_i32_iu8 v48, v3, v8, v48 neg_lo:[1,1,0]
	v_dot4_i32_iu8 v49, v3, v9, v49 neg_lo:[1,1,0]
	v_dot4_i32_iu8 v50, v3, v10, v50 neg_lo:[1,1,0]
	v_dot4_i32_iu8 v51, v3, v11, v51 neg_lo:[1,1,0]
	ds_load_b128 v[16:19], v113 offset:29696
	s_wait_dscnt 0x2
	v_dot4_i32_iu8 v52, v0, v12, v52 neg_lo:[1,1,0]
	v_dot4_i32_iu8 v53, v0, v13, v53 neg_lo:[1,1,0]
	v_dot4_i32_iu8 v54, v0, v14, v54 neg_lo:[1,1,0]
	v_dot4_i32_iu8 v20, v0, v15, v20 neg_lo:[1,1,0]
	v_dot4_i32_iu8 v55, v1, v12, v55 neg_lo:[1,1,0]
	v_dot4_i32_iu8 v56, v1, v13, v56 neg_lo:[1,1,0]
	v_dot4_i32_iu8 v57, v1, v14, v57 neg_lo:[1,1,0]
	v_dot4_i32_iu8 v21, v1, v15, v21 neg_lo:[1,1,0]
	v_dot4_i32_iu8 v58, v2, v12, v58 neg_lo:[1,1,0]
	v_dot4_i32_iu8 v59, v2, v13, v59 neg_lo:[1,1,0]
	v_dot4_i32_iu8 v60, v2, v14, v60 neg_lo:[1,1,0]
	v_dot4_i32_iu8 v22, v2, v15, v22 neg_lo:[1,1,0]
	v_dot4_i32_iu8 v61, v3, v12, v61 neg_lo:[1,1,0]
	v_dot4_i32_iu8 v62, v3, v13, v62 neg_lo:[1,1,0]
	;; [unrolled: 18-line block ×3, first 2 shown]
	v_dot4_i32_iu8 v26, v7, v10, v26 neg_lo:[1,1,0]
	v_dot4_i32_iu8 v27, v7, v11, v27 neg_lo:[1,1,0]
	;; [unrolled: 1-line block ×16, first 2 shown]
	ds_load_b128 v[8:11], v113 offset:29952
	v_dot4_i32_iu8 v30, v7, v14, v30 neg_lo:[1,1,0]
	v_dot4_i32_iu8 v31, v7, v15, v31 neg_lo:[1,1,0]
	ds_load_b128 v[4:7], v112 offset:13568
	s_wait_dscnt 0x2
	v_dot4_i32_iu8 v32, v0, v16, v32 neg_lo:[1,1,0]
	v_dot4_i32_iu8 v33, v0, v17, v33 neg_lo:[1,1,0]
	v_dot4_i32_iu8 v34, v0, v18, v34 neg_lo:[1,1,0]
	v_dot4_i32_iu8 v35, v0, v19, v35 neg_lo:[1,1,0]
	v_dot4_i32_iu8 v71, v1, v16, v71 neg_lo:[1,1,0]
	v_dot4_i32_iu8 v38, v1, v17, v38 neg_lo:[1,1,0]
	v_dot4_i32_iu8 v39, v1, v18, v39 neg_lo:[1,1,0]
	v_dot4_i32_iu8 v43, v1, v19, v43 neg_lo:[1,1,0]
	v_dot4_i32_iu8 v44, v2, v16, v44 neg_lo:[1,1,0]
	v_dot4_i32_iu8 v45, v2, v17, v45 neg_lo:[1,1,0]
	v_dot4_i32_iu8 v46, v2, v18, v46 neg_lo:[1,1,0]
	v_dot4_i32_iu8 v47, v2, v19, v47 neg_lo:[1,1,0]
	v_dot4_i32_iu8 v48, v3, v16, v48 neg_lo:[1,1,0]
	v_dot4_i32_iu8 v49, v3, v17, v49 neg_lo:[1,1,0]
	v_dot4_i32_iu8 v50, v3, v18, v50 neg_lo:[1,1,0]
	v_dot4_i32_iu8 v51, v3, v19, v51 neg_lo:[1,1,0]
	ds_load_b128 v[12:15], v113 offset:30208
	s_wait_dscnt 0x2
	v_dot4_i32_iu8 v52, v0, v8, v52 neg_lo:[1,1,0]
	v_dot4_i32_iu8 v53, v0, v9, v53 neg_lo:[1,1,0]
	v_dot4_i32_iu8 v54, v0, v10, v54 neg_lo:[1,1,0]
	v_dot4_i32_iu8 v20, v0, v11, v20 neg_lo:[1,1,0]
	v_dot4_i32_iu8 v55, v1, v8, v55 neg_lo:[1,1,0]
	v_dot4_i32_iu8 v56, v1, v9, v56 neg_lo:[1,1,0]
	v_dot4_i32_iu8 v57, v1, v10, v57 neg_lo:[1,1,0]
	v_dot4_i32_iu8 v21, v1, v11, v21 neg_lo:[1,1,0]
	v_dot4_i32_iu8 v58, v2, v8, v58 neg_lo:[1,1,0]
	v_dot4_i32_iu8 v59, v2, v9, v59 neg_lo:[1,1,0]
	v_dot4_i32_iu8 v60, v2, v10, v60 neg_lo:[1,1,0]
	v_dot4_i32_iu8 v22, v2, v11, v22 neg_lo:[1,1,0]
	v_dot4_i32_iu8 v61, v3, v8, v61 neg_lo:[1,1,0]
	v_dot4_i32_iu8 v62, v3, v9, v62 neg_lo:[1,1,0]
	;; [unrolled: 18-line block ×3, first 2 shown]
	v_dot4_i32_iu8 v26, v7, v18, v26 neg_lo:[1,1,0]
	v_dot4_i32_iu8 v27, v7, v19, v27 neg_lo:[1,1,0]
	;; [unrolled: 1-line block ×16, first 2 shown]
	ds_load_b128 v[16:19], v113 offset:30464
	v_dot4_i32_iu8 v30, v7, v10, v30 neg_lo:[1,1,0]
	v_dot4_i32_iu8 v31, v7, v11, v31 neg_lo:[1,1,0]
	ds_load_b128 v[4:7], v112 offset:14080
	ds_load_b128 v[8:11], v112 offset:14336
	s_wait_dscnt 0x3
	v_dot4_i32_iu8 v32, v0, v12, v32 neg_lo:[1,1,0]
	v_dot4_i32_iu8 v33, v0, v13, v33 neg_lo:[1,1,0]
	;; [unrolled: 1-line block ×16, first 2 shown]
	s_lshl_b32 s0, s49, 6
	s_lshl_b32 s2, s49, 7
	s_wait_dscnt 0x1
	v_dot4_i32_iu8 v64, v4, v12, v64 neg_lo:[1,1,0]
	v_dot4_i32_iu8 v65, v4, v13, v65 neg_lo:[1,1,0]
	;; [unrolled: 1-line block ×16, first 2 shown]
	ds_load_b128 v[12:15], v113 offset:30720
	v_dot4_i32_iu8 v52, v0, v16, v52 neg_lo:[1,1,0]
	v_dot4_i32_iu8 v53, v0, v17, v53 neg_lo:[1,1,0]
	;; [unrolled: 1-line block ×4, first 2 shown]
	v_or_b32_e32 v0, s47, v114
	v_dot4_i32_iu8 v58, v2, v16, v58 neg_lo:[1,1,0]
	v_dot4_i32_iu8 v59, v2, v17, v59 neg_lo:[1,1,0]
	;; [unrolled: 1-line block ×4, first 2 shown]
	v_mul_lo_u32 v2, v0, s48
	v_dot4_i32_iu8 v55, v1, v16, v55 neg_lo:[1,1,0]
	v_dot4_i32_iu8 v56, v1, v17, v56 neg_lo:[1,1,0]
	;; [unrolled: 1-line block ×4, first 2 shown]
	v_add_nc_u32_e32 v1, s31, v115
	s_mov_b32 s31, s27
	v_dot4_i32_iu8 v80, v4, v16, v80 neg_lo:[1,1,0]
	v_dot4_i32_iu8 v81, v4, v17, v81 neg_lo:[1,1,0]
	;; [unrolled: 1-line block ×3, first 2 shown]
	v_mad_co_u64_u32 v[20:21], null, v1, s49, v[2:3]
	v_dot4_i32_iu8 v68, v4, v19, v68 neg_lo:[1,1,0]
	v_dot4_i32_iu8 v61, v3, v16, v61 neg_lo:[1,1,0]
	;; [unrolled: 1-line block ×5, first 2 shown]
	s_wait_alu 0xfffe
	s_add_co_i32 s1, s0, s48
	s_wait_kmcnt 0x0
	buffer_load_b32 v2, v20, s[28:31], null offen
	v_add_nc_u32_e32 v4, s0, v20
	s_sub_co_i32 s1, s1, s2
	v_dot4_i32_iu8 v83, v5, v16, v83 neg_lo:[1,1,0]
	v_dot4_i32_iu8 v36, v5, v17, v36 neg_lo:[1,1,0]
	;; [unrolled: 1-line block ×3, first 2 shown]
	buffer_load_b32 v3, v4, s[28:31], null offen
	v_dot4_i32_iu8 v69, v5, v19, v69 neg_lo:[1,1,0]
	v_add_nc_u32_e32 v5, s1, v4
	v_dot4_i32_iu8 v37, v6, v16, v37 neg_lo:[1,1,0]
	v_dot4_i32_iu8 v41, v6, v17, v41 neg_lo:[1,1,0]
	;; [unrolled: 1-line block ×8, first 2 shown]
	ds_load_b128 v[16:19], v113 offset:30976
	ds_load_b128 v[20:23], v112 offset:14592
	buffer_load_b32 v4, v5, s[28:31], null offen
	v_add_nc_u32_e32 v6, s0, v5
	s_wait_dscnt 0x2
	v_dot4_i32_iu8 v31, v8, v12, v32 neg_lo:[1,1,0]
	v_dot4_i32_iu8 v32, v8, v13, v33 neg_lo:[1,1,0]
	;; [unrolled: 1-line block ×4, first 2 shown]
	buffer_load_b32 v5, v6, s[28:31], null offen
	v_dot4_i32_iu8 v35, v9, v12, v71 neg_lo:[1,1,0]
	s_mul_i32 s2, s48, 60
	v_dot4_i32_iu8 v38, v9, v13, v38 neg_lo:[1,1,0]
	v_dot4_i32_iu8 v39, v9, v14, v39 neg_lo:[1,1,0]
	;; [unrolled: 1-line block ×9, first 2 shown]
	s_wait_dscnt 0x1
	v_dot4_i32_iu8 v71, v8, v19, v84 neg_lo:[1,1,0]
	v_dot4_i32_iu8 v84, v9, v19, v85 neg_lo:[1,1,0]
	;; [unrolled: 1-line block ×4, first 2 shown]
	v_add_nc_u32_e32 v87, s1, v6
	s_wait_dscnt 0x0
	v_dot4_i32_iu8 v88, v23, v19, v7 neg_lo:[1,1,0]
	v_dot4_i32_iu8 v50, v11, v14, v50 neg_lo:[1,1,0]
	v_dot4_i32_iu8 v51, v11, v15, v51 neg_lo:[1,1,0]
	v_dot4_i32_iu8 v52, v8, v16, v52 neg_lo:[1,1,0]
	buffer_load_b32 v6, v87, s[28:31], null offen
	v_add_nc_u32_e32 v87, s0, v87
	v_dot4_i32_iu8 v53, v8, v17, v53 neg_lo:[1,1,0]
	v_dot4_i32_iu8 v54, v8, v18, v54 neg_lo:[1,1,0]
	v_dot4_i32_iu8 v55, v9, v16, v55 neg_lo:[1,1,0]
	v_dot4_i32_iu8 v56, v9, v17, v56 neg_lo:[1,1,0]
	buffer_load_b32 v7, v87, s[28:31], null offen
	v_add_nc_u32_e32 v87, s1, v87
	;; [unrolled: 6-line block ×3, first 2 shown]
	v_dot4_i32_iu8 v61, v11, v16, v61 neg_lo:[1,1,0]
	v_dot4_i32_iu8 v62, v11, v17, v62 neg_lo:[1,1,0]
	;; [unrolled: 1-line block ×3, first 2 shown]
	ds_load_b128 v[8:11], v112 offset:14848
	buffer_load_b32 v90, v87, s[28:31], null offen
	v_add3_u32 v87, s1, s2, v87
	v_dot4_i32_iu8 v64, v20, v12, v64 neg_lo:[1,1,0]
	v_dot4_i32_iu8 v65, v20, v13, v65 neg_lo:[1,1,0]
	;; [unrolled: 1-line block ×16, first 2 shown]
	ds_load_b128 v[12:15], v113 offset:31232
	v_dot4_i32_iu8 v80, v20, v16, v80 neg_lo:[1,1,0]
	v_dot4_i32_iu8 v81, v20, v17, v81 neg_lo:[1,1,0]
	;; [unrolled: 1-line block ×15, first 2 shown]
	ds_load_b128 v[16:19], v113 offset:31488
	ds_load_b128 v[20:23], v112 offset:15104
	buffer_load_b32 v91, v87, s[28:31], null offen
	v_add_nc_u32_e32 v87, s0, v87
	s_wait_dscnt 0x2
	v_dot4_i32_iu8 v31, v8, v12, v31 neg_lo:[1,1,0]
	v_dot4_i32_iu8 v32, v8, v13, v32 neg_lo:[1,1,0]
	;; [unrolled: 1-line block ×16, first 2 shown]
	s_wait_dscnt 0x1
	v_dot4_i32_iu8 v52, v8, v16, v52 neg_lo:[1,1,0]
	v_dot4_i32_iu8 v53, v8, v17, v53 neg_lo:[1,1,0]
	;; [unrolled: 1-line block ×16, first 2 shown]
	ds_load_b128 v[8:11], v112 offset:15360
	s_wait_dscnt 0x1
	v_dot4_i32_iu8 v64, v20, v12, v64 neg_lo:[1,1,0]
	v_dot4_i32_iu8 v65, v20, v13, v65 neg_lo:[1,1,0]
	;; [unrolled: 1-line block ×16, first 2 shown]
	ds_load_b128 v[12:15], v113 offset:31744
	v_dot4_i32_iu8 v80, v20, v16, v80 neg_lo:[1,1,0]
	v_dot4_i32_iu8 v81, v20, v17, v81 neg_lo:[1,1,0]
	;; [unrolled: 1-line block ×16, first 2 shown]
	ds_load_b128 v[16:19], v113 offset:32000
	ds_load_b128 v[20:23], v112 offset:15616
	buffer_load_b32 v92, v87, s[28:31], null offen
	v_add_nc_u32_e32 v87, s1, v87
	s_wait_dscnt 0x2
	v_dot4_i32_iu8 v31, v8, v12, v31 neg_lo:[1,1,0]
	v_dot4_i32_iu8 v32, v8, v13, v32 neg_lo:[1,1,0]
	;; [unrolled: 1-line block ×4, first 2 shown]
	buffer_load_b32 v93, v87, s[28:31], null offen
	v_add_nc_u32_e32 v87, s0, v87
	v_dot4_i32_iu8 v35, v9, v12, v35 neg_lo:[1,1,0]
	v_dot4_i32_iu8 v38, v9, v13, v38 neg_lo:[1,1,0]
	;; [unrolled: 1-line block ×4, first 2 shown]
	buffer_load_b32 v94, v87, s[28:31], null offen
	v_add_nc_u32_e32 v87, s1, v87
	v_dot4_i32_iu8 v44, v10, v12, v44 neg_lo:[1,1,0]
	v_dot4_i32_iu8 v45, v10, v13, v45 neg_lo:[1,1,0]
	;; [unrolled: 1-line block ×4, first 2 shown]
	buffer_load_b32 v95, v87, s[28:31], null offen
	v_dot4_i32_iu8 v48, v11, v12, v48 neg_lo:[1,1,0]
	v_dot4_i32_iu8 v49, v11, v13, v49 neg_lo:[1,1,0]
	;; [unrolled: 1-line block ×4, first 2 shown]
	s_wait_dscnt 0x1
	v_dot4_i32_iu8 v52, v8, v16, v52 neg_lo:[1,1,0]
	v_dot4_i32_iu8 v53, v8, v17, v53 neg_lo:[1,1,0]
	;; [unrolled: 1-line block ×16, first 2 shown]
	ds_load_b128 v[8:11], v112 offset:15872
	s_wait_dscnt 0x1
	v_dot4_i32_iu8 v64, v20, v12, v64 neg_lo:[1,1,0]
	v_dot4_i32_iu8 v65, v20, v13, v65 neg_lo:[1,1,0]
	;; [unrolled: 1-line block ×16, first 2 shown]
	ds_load_b128 v[12:15], v113 offset:32256
	v_dot4_i32_iu8 v80, v20, v16, v80 neg_lo:[1,1,0]
	v_dot4_i32_iu8 v81, v20, v17, v81 neg_lo:[1,1,0]
	;; [unrolled: 1-line block ×16, first 2 shown]
	ds_load_b128 v[16:19], v113 offset:32512
	ds_load_b128 v[20:23], v112 offset:16128
	v_add_nc_u32_e32 v87, s0, v87
	v_cmp_gt_i32_e32 vcc_lo, s40, v1
	s_wait_dscnt 0x2
	v_dot4_i32_iu8 v31, v8, v12, v31 neg_lo:[1,1,0]
	v_dot4_i32_iu8 v32, v8, v13, v32 neg_lo:[1,1,0]
	;; [unrolled: 1-line block ×3, first 2 shown]
	buffer_load_b32 v96, v87, s[28:31], null offen
	v_dot4_i32_iu8 v34, v8, v15, v34 neg_lo:[1,1,0]
	v_dot4_i32_iu8 v35, v9, v12, v35 neg_lo:[1,1,0]
	;; [unrolled: 1-line block ×12, first 2 shown]
	s_wait_dscnt 0x1
	v_dot4_i32_iu8 v52, v8, v16, v52 neg_lo:[1,1,0]
	v_dot4_i32_iu8 v53, v8, v17, v53 neg_lo:[1,1,0]
	;; [unrolled: 1-line block ×4, first 2 shown]
	v_add_nc_u32_e32 v71, s1, v87
	v_dot4_i32_iu8 v55, v9, v16, v55 neg_lo:[1,1,0]
	v_dot4_i32_iu8 v56, v9, v17, v56 neg_lo:[1,1,0]
	;; [unrolled: 1-line block ×4, first 2 shown]
	buffer_load_b32 v84, v71, s[28:31], null offen
	v_add_nc_u32_e32 v71, s0, v71
	v_cmp_gt_i32_e64 s1, s43, v0
	s_wait_dscnt 0x0
	v_dot4_i32_iu8 v64, v20, v12, v64 neg_lo:[1,1,0]
	v_dot4_i32_iu8 v65, v20, v13, v65 neg_lo:[1,1,0]
	;; [unrolled: 1-line block ×3, first 2 shown]
	buffer_load_b32 v71, v71, s[28:31], null offen
	s_and_b32 s0, s1, vcc_lo
	v_dot4_i32_iu8 v67, v20, v15, v67 neg_lo:[1,1,0]
	v_dot4_i32_iu8 v72, v21, v12, v72 neg_lo:[1,1,0]
	;; [unrolled: 1-line block ×19, first 2 shown]
	v_add_nc_u32_e32 v30, 64, v1
	v_dot4_i32_iu8 v51, v11, v15, v51 neg_lo:[1,1,0]
	v_dot4_i32_iu8 v58, v10, v16, v58 neg_lo:[1,1,0]
	;; [unrolled: 1-line block ×19, first 2 shown]
	v_or_b32_e32 v69, 0x42, v0
	s_lshl_b32 s3, s35, 6
	s_wait_loadcnt 0xf
	s_wait_alu 0xfffe
	v_cndmask_b32_e64 v2, 0, v2, s0
	v_cmp_gt_i32_e64 s0, s40, v30
	s_delay_alu instid0(VALU_DEP_2)
	v_lshrrev_b32_e32 v68, 8, v2
	v_add_nc_u16 v28, v2, v31
	s_and_b32 s1, s1, s0
	s_wait_loadcnt 0xe
	s_wait_alu 0xfffe
	v_cndmask_b32_e64 v3, 0, v3, s1
	v_add_nc_u16 v29, v68, v32
	v_bfe_i32 v23, v28, 0, 8
	v_or_b32_e32 v32, 1, v0
	s_delay_alu instid0(VALU_DEP_4) | instskip(NEXT) | instid1(VALU_DEP_4)
	v_add_nc_u16 v31, v3, v52
	v_bfe_i32 v28, v29, 0, 8
	v_lshrrev_b32_e32 v29, 16, v2
	v_lshrrev_b32_e32 v2, 24, v2
	v_cmp_gt_i32_e64 s1, s43, v32
	v_max_i16 v23, v23, 0
	v_max_i16 v28, v28, 0
	v_add_nc_u16 v29, v29, v33
	v_add_nc_u16 v2, v2, v34
	v_lshrrev_b32_e32 v33, 8, v3
	s_and_b32 s2, s1, vcc_lo
	s_and_b32 s1, s1, s0
	s_wait_loadcnt 0xd
	s_wait_alu 0xfffe
	v_cndmask_b32_e64 v4, 0, v4, s2
	v_bfe_i32 v2, v2, 0, 8
	s_wait_loadcnt 0xc
	v_cndmask_b32_e64 v5, 0, v5, s1
	v_bfe_i32 v29, v29, 0, 8
	v_bfe_i32 v31, v31, 0, 8
	v_lshrrev_b32_e32 v52, 8, v4
	v_max_i16 v34, v2, 0
	v_add_nc_u16 v2, v33, v53
	v_lshrrev_b32_e32 v33, 16, v3
	v_lshrrev_b32_e32 v3, 24, v3
	v_and_b32_e32 v23, 0xffff, v23
	v_and_b32_e32 v28, 0xffff, v28
	v_bfe_i32 v2, v2, 0, 8
	v_add_nc_u16 v33, v33, v54
	v_add_nc_u16 v3, v3, v8
	v_max_i16 v29, v29, 0
	v_max_i16 v31, v31, 0
	;; [unrolled: 1-line block ×3, first 2 shown]
	v_bfe_i32 v8, v33, 0, 8
	v_add_nc_u16 v33, v4, v35
	v_add_nc_u16 v35, v52, v38
	v_and_b32_e32 v31, 0xffff, v31
	v_and_b32_e32 v38, 0xffff, v2
	v_bfe_i32 v2, v3, 0, 8
	v_max_i16 v3, v8, 0
	v_bfe_i32 v8, v33, 0, 8
	v_bfe_i32 v33, v35, 0, 8
	v_lshrrev_b32_e32 v35, 16, v4
	v_max_i16 v52, v2, 0
	v_lshrrev_b32_e32 v2, 24, v4
	v_max_i16 v4, v8, 0
	v_max_i16 v8, v33, 0
	v_add_nc_u16 v33, v35, v39
	v_or_b32_e32 v39, 2, v0
	v_add_nc_u16 v2, v2, v43
	v_lshrrev_b32_e32 v43, 8, v5
	v_add_nc_u16 v35, v5, v55
	v_bfe_i32 v33, v33, 0, 8
	v_cmp_gt_i32_e64 s1, s43, v39
	v_bfe_i32 v2, v2, 0, 8
	v_and_b32_e32 v4, 0xffff, v4
	v_bfe_i32 v35, v35, 0, 8
	v_and_b32_e32 v8, 0xffff, v8
	s_and_b32 s2, s1, vcc_lo
	v_max_i16 v53, v2, 0
	v_add_nc_u16 v2, v43, v56
	v_lshrrev_b32_e32 v43, 16, v5
	s_wait_loadcnt 0xb
	s_wait_alu 0xfffe
	v_cndmask_b32_e64 v6, 0, v6, s2
	v_lshrrev_b32_e32 v5, 24, v5
	s_and_b32 s1, s1, s0
	v_bfe_i32 v2, v2, 0, 8
	v_add_nc_u16 v43, v43, v57
	v_lshrrev_b32_e32 v54, 8, v6
	v_add_nc_u16 v5, v5, v9
	s_wait_loadcnt 0xa
	s_wait_alu 0xfffe
	v_cndmask_b32_e64 v7, 0, v7, s1
	v_max_i16 v2, v2, 0
	v_bfe_i32 v9, v43, 0, 8
	v_add_nc_u16 v43, v6, v44
	v_add_nc_u16 v44, v54, v45
	v_max_i16 v35, v35, 0
	v_and_b32_e32 v45, 0xffff, v2
	v_bfe_i32 v2, v5, 0, 8
	v_max_i16 v5, v9, 0
	v_bfe_i32 v9, v43, 0, 8
	v_bfe_i32 v43, v44, 0, 8
	v_lshrrev_b32_e32 v44, 16, v6
	v_max_i16 v54, v2, 0
	v_lshrrev_b32_e32 v2, 24, v6
	v_max_i16 v6, v9, 0
	v_max_i16 v9, v43, 0
	v_add_nc_u16 v43, v44, v46
	v_or_b32_e32 v46, 3, v0
	v_add_nc_u16 v2, v2, v47
	v_lshrrev_b32_e32 v47, 8, v7
	v_add_nc_u16 v44, v7, v58
	v_and_b32_e32 v35, 0xffff, v35
	v_cmp_gt_i32_e64 s1, s43, v46
	v_bfe_i32 v2, v2, 0, 8
	v_bfe_i32 v43, v43, 0, 8
	;; [unrolled: 1-line block ×3, first 2 shown]
	v_max_i16 v33, v33, 0
	s_and_b32 s2, s1, vcc_lo
	v_max_i16 v55, v2, 0
	v_add_nc_u16 v2, v47, v59
	v_lshrrev_b32_e32 v47, 16, v7
	s_wait_loadcnt 0x9
	s_wait_alu 0xfffe
	v_cndmask_b32_e64 v56, 0, v89, s2
	v_lshrrev_b32_e32 v7, 24, v7
	s_and_b32 s1, s1, s0
	v_bfe_i32 v2, v2, 0, 8
	v_add_nc_u16 v47, v47, v60
	v_lshrrev_b32_e32 v57, 8, v56
	v_add_nc_u16 v7, v7, v10
	v_and_b32_e32 v6, 0xffff, v6
	v_max_i16 v2, v2, 0
	v_bfe_i32 v10, v47, 0, 8
	v_add_nc_u16 v47, v56, v48
	v_add_nc_u16 v48, v57, v49
	v_and_b32_e32 v9, 0xffff, v9
	v_and_b32_e32 v49, 0xffff, v2
	v_bfe_i32 v2, v7, 0, 8
	v_max_i16 v7, v10, 0
	v_bfe_i32 v10, v47, 0, 8
	v_bfe_i32 v47, v48, 0, 8
	v_lshrrev_b32_e32 v48, 16, v56
	v_max_i16 v57, v2, 0
	v_lshrrev_b32_e32 v2, 24, v56
	v_or_b32_e32 v56, 64, v0
	v_max_i16 v43, v43, 0
	v_add_nc_u16 v48, v48, v50
	s_wait_loadcnt 0x8
	s_wait_alu 0xfffe
	v_cndmask_b32_e64 v50, 0, v90, s1
	v_add_nc_u16 v2, v2, v51
	v_cmp_gt_i32_e64 s1, s43, v56
	v_lshlrev_b32_e32 v5, 16, v5
	v_max_i16 v44, v44, 0
	v_lshrrev_b32_e32 v58, 8, v50
	v_bfe_i32 v2, v2, 0, 8
	s_and_b32 s2, s1, vcc_lo
	v_add_nc_u16 v51, v50, v61
	s_wait_loadcnt 0x7
	s_wait_alu 0xfffe
	v_cndmask_b32_e64 v60, 0, v91, s2
	s_and_b32 s1, s1, s0
	v_max_i16 v59, v2, 0
	v_add_nc_u16 v2, v58, v62
	v_lshrrev_b32_e32 v58, 16, v50
	v_lshrrev_b32_e32 v50, 24, v50
	;; [unrolled: 1-line block ×3, first 2 shown]
	v_bfe_i32 v51, v51, 0, 8
	v_bfe_i32 v2, v2, 0, 8
	v_add_nc_u16 v58, v58, v63
	v_add_nc_u16 v11, v50, v11
	;; [unrolled: 1-line block ×3, first 2 shown]
	v_lshl_or_b32 v4, v8, 8, v4
	v_max_i16 v2, v2, 0
	v_bfe_i32 v50, v58, 0, 8
	v_add_nc_u16 v58, v60, v64
	v_or_b32_e32 v64, 0x41, v0
	v_lshlrev_b32_e32 v8, 16, v33
	v_and_b32_e32 v62, 0xffff, v2
	v_bfe_i32 v2, v11, 0, 8
	v_max_i16 v11, v50, 0
	v_bfe_i32 v50, v58, 0, 8
	v_bfe_i32 v58, v61, 0, 8
	v_lshrrev_b32_e32 v61, 16, v60
	v_max_i16 v63, v2, 0
	v_lshrrev_b32_e32 v2, 24, v60
	v_lshl_or_b32 v6, v9, 8, v6
	v_lshlrev_b32_e32 v9, 16, v43
	v_add_nc_u16 v60, v61, v66
	s_wait_loadcnt 0x6
	s_wait_alu 0xfffe
	v_cndmask_b32_e64 v61, 0, v92, s1
	v_add_nc_u16 v2, v2, v67
	v_cmp_gt_i32_e64 s1, s43, v64
	v_and_b32_e32 v44, 0xffff, v44
	v_max_i16 v51, v51, 0
	v_lshrrev_b32_e32 v65, 8, v61
	v_bfe_i32 v2, v2, 0, 8
	v_add_nc_u16 v24, v61, v24
	s_and_b32 s2, s1, vcc_lo
	s_and_b32 s1, s1, s0
	v_max_i16 v10, v10, 0
	v_max_i16 v66, v2, 0
	v_add_nc_u16 v2, v65, v25
	v_lshrrev_b32_e32 v25, 16, v61
	v_lshrrev_b32_e32 v61, 24, v61
	s_wait_loadcnt 0x5
	s_wait_alu 0xfffe
	v_cndmask_b32_e64 v65, 0, v93, s2
	v_max_i16 v47, v47, 0
	v_bfe_i32 v2, v2, 0, 8
	v_add_nc_u16 v25, v25, v26
	v_add_nc_u16 v20, v61, v20
	v_add_nc_u16 v61, v65, v72
	v_lshrrev_b32_e32 v26, 8, v65
	v_max_i16 v2, v2, 0
	v_bfe_i32 v25, v25, 0, 8
	v_bfe_i32 v48, v48, 0, 8
	v_and_b32_e32 v51, 0xffff, v51
	v_add_nc_u16 v26, v26, v73
	v_and_b32_e32 v67, 0xffff, v2
	v_bfe_i32 v2, v20, 0, 8
	v_max_i16 v20, v25, 0
	v_bfe_i32 v25, v61, 0, 8
	v_lshrrev_b32_e32 v61, 16, v65
	v_lshlrev_b32_e32 v7, 16, v7
	v_max_i16 v68, v2, 0
	v_lshrrev_b32_e32 v2, 24, v65
	s_wait_loadcnt 0x4
	v_cndmask_b32_e64 v65, 0, v94, s1
	v_cmp_gt_i32_e64 s1, s43, v69
	v_add_nc_u16 v61, v61, v74
	v_and_b32_e32 v10, 0xffff, v10
	v_add_nc_u16 v2, v2, v75
	v_lshrrev_b32_e32 v70, 8, v65
	s_and_b32 s2, s1, vcc_lo
	v_add_nc_u16 v27, v65, v27
	s_and_b32 s1, s1, s0
	v_bfe_i32 v2, v2, 0, 8
	v_and_b32_e32 v47, 0xffff, v47
	v_max_i16 v48, v48, 0
	v_bfe_i32 v26, v26, 0, 8
	v_max_i16 v25, v25, 0
	v_max_i16 v72, v2, 0
	v_add_nc_u16 v2, v70, v36
	v_lshrrev_b32_e32 v36, 16, v65
	s_wait_loadcnt 0x3
	s_wait_alu 0xfffe
	v_cndmask_b32_e64 v70, 0, v95, s2
	v_lshl_or_b32 v10, v47, 8, v10
	v_max_i16 v26, v26, 0
	v_bfe_i32 v2, v2, 0, 8
	v_add_nc_u16 v36, v36, v40
	v_lshrrev_b32_e32 v40, 24, v65
	v_lshrrev_b32_e32 v65, 8, v70
	v_bfe_i32 v61, v61, 0, 8
	v_max_i16 v2, v2, 0
	v_and_b32_e32 v25, 0xffff, v25
	v_add_nc_u16 v21, v40, v21
	v_add_nc_u16 v40, v70, v76
	;; [unrolled: 1-line block ×3, first 2 shown]
	v_and_b32_e32 v73, 0xffff, v2
	v_or_b32_e32 v77, 0x43, v0
	v_bfe_i32 v2, v21, 0, 8
	v_bfe_i32 v21, v40, 0, 8
	;; [unrolled: 1-line block ×3, first 2 shown]
	v_lshrrev_b32_e32 v65, 16, v70
	v_lshrrev_b32_e32 v70, 24, v70
	v_max_i16 v74, v2, 0
	v_max_i16 v2, v21, 0
	;; [unrolled: 1-line block ×3, first 2 shown]
	v_add_nc_u16 v40, v65, v78
	v_add_nc_u16 v65, v70, v79
	s_wait_loadcnt 0x2
	v_cndmask_b32_e64 v70, 0, v96, s1
	v_and_b32_e32 v75, 0xffff, v2
	v_cmp_gt_i32_e64 s1, s43, v77
	v_bfe_i32 v2, v40, 0, 8
	v_bfe_i32 v40, v65, 0, 8
	v_add_nc_u16 v37, v70, v37
	v_lshrrev_b32_e32 v65, 8, v70
	s_and_b32 vcc_lo, s1, vcc_lo
	v_max_i16 v76, v2, 0
	v_and_b32_e32 v26, 0xffff, v26
	v_bfe_i32 v2, v37, 0, 8
	v_add_nc_u16 v37, v65, v41
	v_lshrrev_b32_e32 v41, 16, v70
	v_lshrrev_b32_e32 v65, 24, v70
	v_max_i16 v61, v61, 0
	v_max_i16 v2, v2, 0
	v_bfe_i32 v37, v37, 0, 8
	v_add_nc_u16 v41, v41, v42
	v_add_nc_u16 v22, v65, v22
	s_wait_loadcnt 0x1
	s_wait_alu 0xfffe
	v_dual_cndmask_b32 v42, 0, v84 :: v_dual_and_b32 v65, 0xffff, v2
	v_max_i16 v2, v37, 0
	v_bfe_i32 v37, v41, 0, 8
	s_and_b32 vcc_lo, s1, s0
	s_delay_alu instid0(VALU_DEP_3)
	v_lshrrev_b32_e32 v41, 8, v42
	v_add_nc_u16 v12, v42, v12
	v_and_b32_e32 v70, 0xffff, v2
	v_cmp_gt_i32_e64 s0, s33, v0
	v_bfe_i32 v22, v22, 0, 8
	v_add_nc_u16 v2, v41, v13
	v_lshrrev_b32_e32 v13, 16, v42
	s_wait_loadcnt 0x0
	s_wait_alu 0xfffe
	v_cndmask_b32_e32 v41, 0, v71, vcc_lo
	v_cmp_gt_i32_e32 vcc_lo, s19, v1
	v_bfe_i32 v12, v12, 0, 8
	v_bfe_i32 v2, v2, 0, 8
	v_add_nc_u16 v13, v13, v14
	v_lshrrev_b32_e32 v14, 24, v42
	v_lshrrev_b32_e32 v42, 8, v41
	v_add_nc_u16 v16, v41, v16
	v_max_i16 v2, v2, 0
	s_and_b32 s1, s0, vcc_lo
	v_max_i16 v12, v12, 0
	v_add_nc_u16 v17, v42, v17
	v_bfe_i32 v13, v13, 0, 8
	v_and_b32_e32 v42, 0xffff, v2
	v_add_nc_u16 v2, v14, v15
	v_bfe_i32 v14, v16, 0, 8
	v_bfe_i32 v15, v17, 0, 8
	v_lshrrev_b32_e32 v17, 24, v41
	v_lshrrev_b32_e32 v16, 16, v41
	v_bfe_i32 v2, v2, 0, 8
	v_and_b32_e32 v12, 0xffff, v12
	v_max_i16 v13, v13, 0
	v_add_nc_u16 v17, v17, v19
	v_add_nc_u16 v16, v16, v18
	v_max_i16 v18, v2, 0
	v_mul_lo_u32 v2, v0, s34
	v_lshl_or_b32 v19, v28, 8, v23
	v_bfe_i32 v17, v17, 0, 8
	v_bfe_i32 v16, v16, 0, 8
	v_lshlrev_b32_e32 v23, 16, v29
	v_lshlrev_b32_e32 v28, 24, v34
	v_max_i16 v14, v14, 0
	v_max_i16 v15, v15, 0
	v_mad_co_u64_u32 v[0:1], null, v1, s35, v[2:3]
	v_max_i16 v2, v17, 0
	s_wait_alu 0xfffe
	v_cndmask_b32_e64 v17, 0x80000000, 0, s1
	v_cmp_gt_i32_e64 s1, s19, v30
	v_max_i16 v1, v16, 0
	v_or3_b32 v16, v19, v23, v28
	v_lshl_or_b32 v23, v38, 8, v31
	v_add_nc_u32_e32 v19, s3, v0
	s_and_b32 s0, s0, s1
	v_lshlrev_b32_e32 v3, 16, v3
	v_lshlrev_b32_e32 v28, 24, v52
	s_wait_alu 0xfffe
	v_cndmask_b32_e64 v29, 0x80000000, 0, s0
	v_cmp_gt_i32_e64 s0, s33, v32
	v_add_nc_u32_e32 v17, v17, v0
	s_mov_b32 s19, s27
	v_or3_b32 v3, v23, v3, v28
	v_add_nc_u32_e32 v23, v29, v19
	s_and_b32 s2, s0, s1
	s_clause 0x1
	buffer_store_b32 v16, v17, s[16:19], null offen
	buffer_store_b32 v3, v23, s[16:19], null offen
	v_cndmask_b32_e64 v16, 0x80000000, 0, s2
	v_cmp_gt_i32_e64 s2, s33, v39
	v_lshl_or_b32 v28, v45, 8, v35
	v_lshlrev_b32_e32 v29, 24, v54
	s_and_b32 s0, s0, vcc_lo
	v_add_nc_u32_e32 v3, s34, v19
	s_wait_alu 0xfffe
	v_cndmask_b32_e64 v19, 0x80000000, 0, s0
	s_and_b32 s0, s2, vcc_lo
	v_add_nc_u32_e32 v0, s34, v0
	v_lshlrev_b32_e32 v17, 24, v53
	v_or3_b32 v5, v28, v5, v29
	v_lshlrev_b32_e32 v23, 24, v55
	s_wait_alu 0xfffe
	v_cndmask_b32_e64 v28, 0x80000000, 0, s0
	v_add_nc_u32_e32 v16, v16, v3
	v_add_nc_u32_e32 v3, s34, v3
	s_and_b32 s0, s2, s1
	v_or3_b32 v4, v4, v8, v17
	v_add_nc_u32_e32 v8, v0, v19
	v_or3_b32 v6, v6, v9, v23
	v_add3_u32 v0, v28, s34, v0
	s_wait_alu 0xfffe
	v_cndmask_b32_e64 v19, 0x80000000, 0, s0
	v_cmp_gt_i32_e64 s0, s33, v46
	v_lshl_or_b32 v9, v49, 8, v44
	v_lshlrev_b32_e32 v17, 24, v57
	s_clause 0x2
	buffer_store_b32 v5, v16, s[16:19], null offen
	buffer_store_b32 v4, v8, s[16:19], null offen
	;; [unrolled: 1-line block ×3, first 2 shown]
	v_add_nc_u32_e32 v5, s34, v3
	s_and_b32 s2, s0, s1
	s_and_b32 s0, s0, vcc_lo
	v_or3_b32 v0, v9, v7, v17
	v_add_nc_u32_e32 v4, v3, v19
	v_lshl_or_b32 v6, v62, 8, v51
	v_lshlrev_b32_e32 v7, 16, v11
	v_lshlrev_b32_e32 v8, 24, v63
	s_wait_alu 0xfffe
	v_cndmask_b32_e64 v9, 0x80000000, 0, s2
	v_subrev_nc_u32_e32 v11, s3, v5
	v_lshlrev_b32_e32 v16, 16, v48
	v_lshlrev_b32_e32 v17, 24, v59
	v_cndmask_b32_e64 v19, 0x80000000, 0, s0
	v_cmp_gt_i32_e64 s0, s33, v77
	buffer_store_b32 v0, v4, s[16:19], null offen
	v_or3_b32 v0, v6, v7, v8
	v_add_nc_u32_e32 v4, v5, v9
	v_or3_b32 v6, v10, v16, v17
	v_add_nc_u32_e32 v7, v11, v19
	s_and_b32 s4, s0, vcc_lo
	s_and_b32 s0, s0, s1
	s_clause 0x1
	buffer_store_b32 v0, v4, s[16:19], null offen
	buffer_store_b32 v6, v7, s[16:19], null offen
	v_cndmask_b32_e64 v7, 0x80000000, 0, s0
	v_cmp_ge_i32_e64 s0, s33, v77
	v_max_i16 v37, v37, 0
	v_max_i16 v22, v22, 0
	v_and_b32_e32 v14, 0xffff, v14
	v_and_b32_e32 v15, 0xffff, v15
	v_lshl_or_b32 v8, v42, 8, v12
	v_lshlrev_b32_e32 v9, 16, v13
	v_lshlrev_b32_e32 v10, 24, v18
	s_and_b32 s0, s0, s1
	v_lshl_or_b32 v6, v15, 8, v14
	s_wait_alu 0xfffe
	v_cndmask_b32_e64 v12, 0x80000000, 0, s0
	v_cmp_gt_i32_e64 s0, s33, v69
	v_or3_b32 v0, v8, v9, v10
	v_lshlrev_b32_e32 v1, 16, v1
	v_lshlrev_b32_e32 v2, 24, v2
	v_lshl_or_b32 v8, v70, 8, v65
	v_lshlrev_b32_e32 v9, 16, v37
	v_lshlrev_b32_e32 v10, 24, v22
	s_lshl_b32 s2, s34, 6
	v_cndmask_b32_e64 v4, 0x80000000, 0, s4
	s_and_b32 s0, s0, vcc_lo
	s_wait_alu 0xfffe
	v_add_nc_u32_e32 v3, s2, v3
	v_or3_b32 v1, v6, v1, v2
	v_add3_u32 v2, v5, s2, v7
	v_or3_b32 v5, v8, v9, v10
	v_cndmask_b32_e64 v10, 0x80000000, 0, s0
	v_cmp_ge_i32_e64 s0, s33, v69
	v_add3_u32 v4, v4, s2, v11
	v_add_nc_u32_e32 v6, v3, v12
	v_subrev_nc_u32_e32 v3, s3, v3
	v_bfe_i32 v27, v27, 0, 8
	s_and_b32 s0, s0, vcc_lo
	s_clause 0x2
	buffer_store_b32 v0, v4, s[16:19], null offen
	buffer_store_b32 v1, v2, s[16:19], null offen
	;; [unrolled: 1-line block ×3, first 2 shown]
	v_cndmask_b32_e64 v6, 0x80000000, 0, s0
	v_cmp_gt_i32_e64 s0, s33, v64
	v_add_nc_u32_e32 v1, v3, v10
	v_subrev_nc_u32_e32 v2, s34, v3
	v_lshl_or_b32 v3, v26, 8, v25
	v_lshlrev_b32_e32 v4, 16, v61
	v_lshlrev_b32_e32 v5, 24, v72
	v_bfe_i32 v24, v24, 0, 8
	v_max_i16 v27, v27, 0
	v_bfe_i32 v36, v36, 0, 8
	v_and_b32_e32 v21, 0xffff, v21
	v_max_i16 v40, v40, 0
	s_and_b32 s0, s0, s1
	v_or3_b32 v3, v3, v4, v5
	v_add_nc_u32_e32 v4, s3, v2
	v_add_nc_u32_e32 v2, v2, v6
	s_wait_alu 0xfffe
	v_cndmask_b32_e64 v6, 0x80000000, 0, s0
	v_cmp_gt_i32_e64 s0, s33, v56
	v_max_i16 v24, v24, 0
	v_and_b32_e32 v27, 0xffff, v27
	v_max_i16 v36, v36, 0
	v_lshl_or_b32 v7, v21, 8, v75
	v_lshlrev_b32_e32 v8, 16, v76
	v_lshlrev_b32_e32 v9, 24, v40
	v_max_i16 v50, v50, 0
	v_max_i16 v58, v58, 0
	v_bfe_i32 v60, v60, 0, 8
	v_cmp_ge_i32_e64 s2, s33, v64
	s_and_b32 s0, s0, vcc_lo
	v_and_b32_e32 v24, 0xffff, v24
	v_or3_b32 v0, v7, v8, v9
	v_lshl_or_b32 v7, v73, 8, v27
	v_lshlrev_b32_e32 v8, 16, v36
	v_lshlrev_b32_e32 v9, 24, v74
	v_and_b32_e32 v50, 0xffff, v50
	v_and_b32_e32 v58, 0xffff, v58
	v_max_i16 v60, v60, 0
	s_wait_alu 0xfffe
	v_cndmask_b32_e64 v11, 0x80000000, 0, s0
	s_and_b32 s0, s2, s1
	v_or3_b32 v5, v7, v8, v9
	v_subrev_nc_u32_e32 v7, s34, v4
	v_lshl_or_b32 v8, v67, 8, v24
	v_lshlrev_b32_e32 v9, 16, v20
	v_lshlrev_b32_e32 v10, 24, v68
	s_wait_alu 0xfffe
	v_cndmask_b32_e64 v12, 0x80000000, 0, s0
	v_lshl_or_b32 v13, v58, 8, v50
	v_lshlrev_b32_e32 v14, 16, v60
	v_lshlrev_b32_e32 v15, 24, v66
	v_subrev_nc_u32_e32 v11, s3, v11
	v_add_nc_u32_e32 v4, v4, v6
	v_or3_b32 v6, v8, v9, v10
	v_add_nc_u32_e32 v8, v7, v12
	v_or3_b32 v9, v13, v14, v15
	v_add_nc_u32_e32 v7, v11, v7
	s_clause 0x4
	buffer_store_b32 v0, v1, s[16:19], null offen
	buffer_store_b32 v3, v2, s[16:19], null offen
	;; [unrolled: 1-line block ×5, first 2 shown]
	s_nop 0
	s_sendmsg sendmsg(MSG_DEALLOC_VGPRS)
	s_endpgm
	.section	.rodata,"a",@progbits
	.p2align	6, 0x0
	.amdhsa_kernel _ZN2ck16tensor_operation6device12_GLOBAL__N_137kernel_grouped_conv_fwd_dl_multiple_dINS_32GridwiseGemmDlMultipleD_km_kn_mnILi256EaiNS_5TupleIJaEEEaNS0_12element_wise11PassThroughES8_NS7_7AddReluELNS_25InMemoryDataOperationEnumE0ENS_16TensorDescriptorINS5_IJNS_5EmbedINS5_IJiiiEEESD_Lb0EEENS_11PassThroughIiEENS_3PadIiiiLb0EEESG_SG_NSC_INS5_IJiiEEESJ_Lb0EEESG_NS_23Merge_v2_magic_divisionISJ_EESM_NS_8RightPadIiiLb0EEESO_NS_7UnMergeISJ_Lb0EEESG_EEENS5_IJNS_8SequenceIJLi0EEEENSS_IJLi1EEEENSS_IJLi2EEEENSS_IJLi3EEEENSS_IJLi4EEEENSS_IJLi5EEEENSS_IJLi6EEEENSS_IJLi7ELi9EEEENSS_IJLi8ELi10EEEENSS_IJLi11EEEENSS_IJLi12EEEENSS_IJLi14EEEENSS_IJLi13EEEEEEENS5_IJNSS_IJLi1ELi2ELi3EEEESX_SY_SZ_NSS_IJLi7EEEENSS_IJLi8ELi9EEEENSS_IJLi10EEEES12_S13_S15_S14_NSS_IJLi15ELi16EEEENSS_IJLi17EEEEEEENSS_IJLi15ELi17ELi16EEEElEENSB_INS5_IJSQ_SO_SO_SQ_SG_EEENS5_IJST_SU_SV_SX_SW_EEENS5_IJNSS_IJLi1ELi2EEEESW_SX_NSS_IJLi5ELi6EEEES18_EEENSS_IJLi5ELi7ELi6EEEElEENSB_INS5_IJSK_SO_SO_EEENS5_IJST_SU_SV_EEENS5_IJS1I_SW_SX_EEENSS_IJLi3ELi4EEEElEELi128ELi128ELi16ELi4ELi4ELi4ELi1ENSS_IJLi8ELi2EEEES1S_NSS_IJLi8ELi1ELi1ELi4EEEENSS_IJLi2ELi1ELi128ELi1EEEENSS_IJLi1ELi2ELi0ELi3EEEES1V_NSS_IJLi4ELi1ELi1ELi4EEEES1V_NSS_IJLi1ELi1ELi1ELi4EEEES1T_S1U_S1V_S1V_S1W_S1V_S1X_NSS_IJLi0ELi1ELi2ELi3ELi4ELi5EEEELi5ELi4EEEaNS5_IJPKaEEEaS8_S8_S9_NSB_INS5_IJSE_SG_SI_SG_SG_SK_SG_SM_SM_SO_SO_SQ_SG_SG_NSP_INS5_IJiNS_17integral_constantIiLi128EEEEEELb0EEENSF_INS23_IiLi4EEEEEEEENS5_IJST_SU_SV_SW_SX_SY_SZ_S10_S11_S12_S13_S14_S15_NSS_IJLi15EEEES1C_NSS_IJLi16EEEEEEENS5_IJS17_SX_SY_SZ_S18_S19_S1A_S12_S13_S15_S14_S1B_S1C_NSS_IJLi18EEEENSS_IJLi19ELi20EEEENSS_IJLi21EEEEEEENSS_IJLi18ELi19ELi20ELi21EEEElEENSB_INS5_IJSQ_SO_SO_SQ_SG_SG_S26_S28_EEENS5_IJST_SU_SV_SX_SW_SY_S18_SZ_EEENS5_IJS1I_SW_SX_S1J_S18_NSS_IJLi8EEEENSS_IJLi9ELi10EEEES12_EEENSS_IJLi8ELi9ELi10ELi11EEEElEENS5_IJNSB_INS5_IJSK_SO_SO_NSP_INS5_IJiNS23_IiLi2EEENS23_IiLi64EEEEEELb0EEES2T_EEENS5_IJST_SU_SV_SW_SX_EEENS5_IJS1I_SW_SX_NSS_IJLi5ELi6ELi7EEEENSS_IJLi8ELi9ELi10EEEEEEENSS_IJLi5ELi6ELi7ELi8ELi9ELi10EEEElEEEEES30_NS_31BlockToCTileMap_M00_N00_M01_N01ILi128ELi128ES1R_Lb0EEENS1_30ComputePtrOffsetOfStridedBatchILi1ELi1ELi1EvEELb0ELb1EEEvPKT0_S38_T1_PT2_T3_T4_T5_iT6_T7_T8_T9_T10_T11_
		.amdhsa_group_segment_fixed_size 32768
		.amdhsa_private_segment_fixed_size 0
		.amdhsa_kernarg_size 904
		.amdhsa_user_sgpr_count 2
		.amdhsa_user_sgpr_dispatch_ptr 0
		.amdhsa_user_sgpr_queue_ptr 0
		.amdhsa_user_sgpr_kernarg_segment_ptr 1
		.amdhsa_user_sgpr_dispatch_id 0
		.amdhsa_user_sgpr_private_segment_size 0
		.amdhsa_wavefront_size32 1
		.amdhsa_uses_dynamic_stack 0
		.amdhsa_enable_private_segment 0
		.amdhsa_system_sgpr_workgroup_id_x 1
		.amdhsa_system_sgpr_workgroup_id_y 0
		.amdhsa_system_sgpr_workgroup_id_z 0
		.amdhsa_system_sgpr_workgroup_info 0
		.amdhsa_system_vgpr_workitem_id 0
		.amdhsa_next_free_vgpr 189
		.amdhsa_next_free_sgpr 61
		.amdhsa_reserve_vcc 1
		.amdhsa_float_round_mode_32 0
		.amdhsa_float_round_mode_16_64 0
		.amdhsa_float_denorm_mode_32 3
		.amdhsa_float_denorm_mode_16_64 3
		.amdhsa_fp16_overflow 0
		.amdhsa_workgroup_processor_mode 1
		.amdhsa_memory_ordered 1
		.amdhsa_forward_progress 1
		.amdhsa_inst_pref_size 186
		.amdhsa_round_robin_scheduling 0
		.amdhsa_exception_fp_ieee_invalid_op 0
		.amdhsa_exception_fp_denorm_src 0
		.amdhsa_exception_fp_ieee_div_zero 0
		.amdhsa_exception_fp_ieee_overflow 0
		.amdhsa_exception_fp_ieee_underflow 0
		.amdhsa_exception_fp_ieee_inexact 0
		.amdhsa_exception_int_div_zero 0
	.end_amdhsa_kernel
	.section	.text._ZN2ck16tensor_operation6device12_GLOBAL__N_137kernel_grouped_conv_fwd_dl_multiple_dINS_32GridwiseGemmDlMultipleD_km_kn_mnILi256EaiNS_5TupleIJaEEEaNS0_12element_wise11PassThroughES8_NS7_7AddReluELNS_25InMemoryDataOperationEnumE0ENS_16TensorDescriptorINS5_IJNS_5EmbedINS5_IJiiiEEESD_Lb0EEENS_11PassThroughIiEENS_3PadIiiiLb0EEESG_SG_NSC_INS5_IJiiEEESJ_Lb0EEESG_NS_23Merge_v2_magic_divisionISJ_EESM_NS_8RightPadIiiLb0EEESO_NS_7UnMergeISJ_Lb0EEESG_EEENS5_IJNS_8SequenceIJLi0EEEENSS_IJLi1EEEENSS_IJLi2EEEENSS_IJLi3EEEENSS_IJLi4EEEENSS_IJLi5EEEENSS_IJLi6EEEENSS_IJLi7ELi9EEEENSS_IJLi8ELi10EEEENSS_IJLi11EEEENSS_IJLi12EEEENSS_IJLi14EEEENSS_IJLi13EEEEEEENS5_IJNSS_IJLi1ELi2ELi3EEEESX_SY_SZ_NSS_IJLi7EEEENSS_IJLi8ELi9EEEENSS_IJLi10EEEES12_S13_S15_S14_NSS_IJLi15ELi16EEEENSS_IJLi17EEEEEEENSS_IJLi15ELi17ELi16EEEElEENSB_INS5_IJSQ_SO_SO_SQ_SG_EEENS5_IJST_SU_SV_SX_SW_EEENS5_IJNSS_IJLi1ELi2EEEESW_SX_NSS_IJLi5ELi6EEEES18_EEENSS_IJLi5ELi7ELi6EEEElEENSB_INS5_IJSK_SO_SO_EEENS5_IJST_SU_SV_EEENS5_IJS1I_SW_SX_EEENSS_IJLi3ELi4EEEElEELi128ELi128ELi16ELi4ELi4ELi4ELi1ENSS_IJLi8ELi2EEEES1S_NSS_IJLi8ELi1ELi1ELi4EEEENSS_IJLi2ELi1ELi128ELi1EEEENSS_IJLi1ELi2ELi0ELi3EEEES1V_NSS_IJLi4ELi1ELi1ELi4EEEES1V_NSS_IJLi1ELi1ELi1ELi4EEEES1T_S1U_S1V_S1V_S1W_S1V_S1X_NSS_IJLi0ELi1ELi2ELi3ELi4ELi5EEEELi5ELi4EEEaNS5_IJPKaEEEaS8_S8_S9_NSB_INS5_IJSE_SG_SI_SG_SG_SK_SG_SM_SM_SO_SO_SQ_SG_SG_NSP_INS5_IJiNS_17integral_constantIiLi128EEEEEELb0EEENSF_INS23_IiLi4EEEEEEEENS5_IJST_SU_SV_SW_SX_SY_SZ_S10_S11_S12_S13_S14_S15_NSS_IJLi15EEEES1C_NSS_IJLi16EEEEEEENS5_IJS17_SX_SY_SZ_S18_S19_S1A_S12_S13_S15_S14_S1B_S1C_NSS_IJLi18EEEENSS_IJLi19ELi20EEEENSS_IJLi21EEEEEEENSS_IJLi18ELi19ELi20ELi21EEEElEENSB_INS5_IJSQ_SO_SO_SQ_SG_SG_S26_S28_EEENS5_IJST_SU_SV_SX_SW_SY_S18_SZ_EEENS5_IJS1I_SW_SX_S1J_S18_NSS_IJLi8EEEENSS_IJLi9ELi10EEEES12_EEENSS_IJLi8ELi9ELi10ELi11EEEElEENS5_IJNSB_INS5_IJSK_SO_SO_NSP_INS5_IJiNS23_IiLi2EEENS23_IiLi64EEEEEELb0EEES2T_EEENS5_IJST_SU_SV_SW_SX_EEENS5_IJS1I_SW_SX_NSS_IJLi5ELi6ELi7EEEENSS_IJLi8ELi9ELi10EEEEEEENSS_IJLi5ELi6ELi7ELi8ELi9ELi10EEEElEEEEES30_NS_31BlockToCTileMap_M00_N00_M01_N01ILi128ELi128ES1R_Lb0EEENS1_30ComputePtrOffsetOfStridedBatchILi1ELi1ELi1EvEELb0ELb1EEEvPKT0_S38_T1_PT2_T3_T4_T5_iT6_T7_T8_T9_T10_T11_,"axG",@progbits,_ZN2ck16tensor_operation6device12_GLOBAL__N_137kernel_grouped_conv_fwd_dl_multiple_dINS_32GridwiseGemmDlMultipleD_km_kn_mnILi256EaiNS_5TupleIJaEEEaNS0_12element_wise11PassThroughES8_NS7_7AddReluELNS_25InMemoryDataOperationEnumE0ENS_16TensorDescriptorINS5_IJNS_5EmbedINS5_IJiiiEEESD_Lb0EEENS_11PassThroughIiEENS_3PadIiiiLb0EEESG_SG_NSC_INS5_IJiiEEESJ_Lb0EEESG_NS_23Merge_v2_magic_divisionISJ_EESM_NS_8RightPadIiiLb0EEESO_NS_7UnMergeISJ_Lb0EEESG_EEENS5_IJNS_8SequenceIJLi0EEEENSS_IJLi1EEEENSS_IJLi2EEEENSS_IJLi3EEEENSS_IJLi4EEEENSS_IJLi5EEEENSS_IJLi6EEEENSS_IJLi7ELi9EEEENSS_IJLi8ELi10EEEENSS_IJLi11EEEENSS_IJLi12EEEENSS_IJLi14EEEENSS_IJLi13EEEEEEENS5_IJNSS_IJLi1ELi2ELi3EEEESX_SY_SZ_NSS_IJLi7EEEENSS_IJLi8ELi9EEEENSS_IJLi10EEEES12_S13_S15_S14_NSS_IJLi15ELi16EEEENSS_IJLi17EEEEEEENSS_IJLi15ELi17ELi16EEEElEENSB_INS5_IJSQ_SO_SO_SQ_SG_EEENS5_IJST_SU_SV_SX_SW_EEENS5_IJNSS_IJLi1ELi2EEEESW_SX_NSS_IJLi5ELi6EEEES18_EEENSS_IJLi5ELi7ELi6EEEElEENSB_INS5_IJSK_SO_SO_EEENS5_IJST_SU_SV_EEENS5_IJS1I_SW_SX_EEENSS_IJLi3ELi4EEEElEELi128ELi128ELi16ELi4ELi4ELi4ELi1ENSS_IJLi8ELi2EEEES1S_NSS_IJLi8ELi1ELi1ELi4EEEENSS_IJLi2ELi1ELi128ELi1EEEENSS_IJLi1ELi2ELi0ELi3EEEES1V_NSS_IJLi4ELi1ELi1ELi4EEEES1V_NSS_IJLi1ELi1ELi1ELi4EEEES1T_S1U_S1V_S1V_S1W_S1V_S1X_NSS_IJLi0ELi1ELi2ELi3ELi4ELi5EEEELi5ELi4EEEaNS5_IJPKaEEEaS8_S8_S9_NSB_INS5_IJSE_SG_SI_SG_SG_SK_SG_SM_SM_SO_SO_SQ_SG_SG_NSP_INS5_IJiNS_17integral_constantIiLi128EEEEEELb0EEENSF_INS23_IiLi4EEEEEEEENS5_IJST_SU_SV_SW_SX_SY_SZ_S10_S11_S12_S13_S14_S15_NSS_IJLi15EEEES1C_NSS_IJLi16EEEEEEENS5_IJS17_SX_SY_SZ_S18_S19_S1A_S12_S13_S15_S14_S1B_S1C_NSS_IJLi18EEEENSS_IJLi19ELi20EEEENSS_IJLi21EEEEEEENSS_IJLi18ELi19ELi20ELi21EEEElEENSB_INS5_IJSQ_SO_SO_SQ_SG_SG_S26_S28_EEENS5_IJST_SU_SV_SX_SW_SY_S18_SZ_EEENS5_IJS1I_SW_SX_S1J_S18_NSS_IJLi8EEEENSS_IJLi9ELi10EEEES12_EEENSS_IJLi8ELi9ELi10ELi11EEEElEENS5_IJNSB_INS5_IJSK_SO_SO_NSP_INS5_IJiNS23_IiLi2EEENS23_IiLi64EEEEEELb0EEES2T_EEENS5_IJST_SU_SV_SW_SX_EEENS5_IJS1I_SW_SX_NSS_IJLi5ELi6ELi7EEEENSS_IJLi8ELi9ELi10EEEEEEENSS_IJLi5ELi6ELi7ELi8ELi9ELi10EEEElEEEEES30_NS_31BlockToCTileMap_M00_N00_M01_N01ILi128ELi128ES1R_Lb0EEENS1_30ComputePtrOffsetOfStridedBatchILi1ELi1ELi1EvEELb0ELb1EEEvPKT0_S38_T1_PT2_T3_T4_T5_iT6_T7_T8_T9_T10_T11_,comdat
.Lfunc_end3:
	.size	_ZN2ck16tensor_operation6device12_GLOBAL__N_137kernel_grouped_conv_fwd_dl_multiple_dINS_32GridwiseGemmDlMultipleD_km_kn_mnILi256EaiNS_5TupleIJaEEEaNS0_12element_wise11PassThroughES8_NS7_7AddReluELNS_25InMemoryDataOperationEnumE0ENS_16TensorDescriptorINS5_IJNS_5EmbedINS5_IJiiiEEESD_Lb0EEENS_11PassThroughIiEENS_3PadIiiiLb0EEESG_SG_NSC_INS5_IJiiEEESJ_Lb0EEESG_NS_23Merge_v2_magic_divisionISJ_EESM_NS_8RightPadIiiLb0EEESO_NS_7UnMergeISJ_Lb0EEESG_EEENS5_IJNS_8SequenceIJLi0EEEENSS_IJLi1EEEENSS_IJLi2EEEENSS_IJLi3EEEENSS_IJLi4EEEENSS_IJLi5EEEENSS_IJLi6EEEENSS_IJLi7ELi9EEEENSS_IJLi8ELi10EEEENSS_IJLi11EEEENSS_IJLi12EEEENSS_IJLi14EEEENSS_IJLi13EEEEEEENS5_IJNSS_IJLi1ELi2ELi3EEEESX_SY_SZ_NSS_IJLi7EEEENSS_IJLi8ELi9EEEENSS_IJLi10EEEES12_S13_S15_S14_NSS_IJLi15ELi16EEEENSS_IJLi17EEEEEEENSS_IJLi15ELi17ELi16EEEElEENSB_INS5_IJSQ_SO_SO_SQ_SG_EEENS5_IJST_SU_SV_SX_SW_EEENS5_IJNSS_IJLi1ELi2EEEESW_SX_NSS_IJLi5ELi6EEEES18_EEENSS_IJLi5ELi7ELi6EEEElEENSB_INS5_IJSK_SO_SO_EEENS5_IJST_SU_SV_EEENS5_IJS1I_SW_SX_EEENSS_IJLi3ELi4EEEElEELi128ELi128ELi16ELi4ELi4ELi4ELi1ENSS_IJLi8ELi2EEEES1S_NSS_IJLi8ELi1ELi1ELi4EEEENSS_IJLi2ELi1ELi128ELi1EEEENSS_IJLi1ELi2ELi0ELi3EEEES1V_NSS_IJLi4ELi1ELi1ELi4EEEES1V_NSS_IJLi1ELi1ELi1ELi4EEEES1T_S1U_S1V_S1V_S1W_S1V_S1X_NSS_IJLi0ELi1ELi2ELi3ELi4ELi5EEEELi5ELi4EEEaNS5_IJPKaEEEaS8_S8_S9_NSB_INS5_IJSE_SG_SI_SG_SG_SK_SG_SM_SM_SO_SO_SQ_SG_SG_NSP_INS5_IJiNS_17integral_constantIiLi128EEEEEELb0EEENSF_INS23_IiLi4EEEEEEEENS5_IJST_SU_SV_SW_SX_SY_SZ_S10_S11_S12_S13_S14_S15_NSS_IJLi15EEEES1C_NSS_IJLi16EEEEEEENS5_IJS17_SX_SY_SZ_S18_S19_S1A_S12_S13_S15_S14_S1B_S1C_NSS_IJLi18EEEENSS_IJLi19ELi20EEEENSS_IJLi21EEEEEEENSS_IJLi18ELi19ELi20ELi21EEEElEENSB_INS5_IJSQ_SO_SO_SQ_SG_SG_S26_S28_EEENS5_IJST_SU_SV_SX_SW_SY_S18_SZ_EEENS5_IJS1I_SW_SX_S1J_S18_NSS_IJLi8EEEENSS_IJLi9ELi10EEEES12_EEENSS_IJLi8ELi9ELi10ELi11EEEElEENS5_IJNSB_INS5_IJSK_SO_SO_NSP_INS5_IJiNS23_IiLi2EEENS23_IiLi64EEEEEELb0EEES2T_EEENS5_IJST_SU_SV_SW_SX_EEENS5_IJS1I_SW_SX_NSS_IJLi5ELi6ELi7EEEENSS_IJLi8ELi9ELi10EEEEEEENSS_IJLi5ELi6ELi7ELi8ELi9ELi10EEEElEEEEES30_NS_31BlockToCTileMap_M00_N00_M01_N01ILi128ELi128ES1R_Lb0EEENS1_30ComputePtrOffsetOfStridedBatchILi1ELi1ELi1EvEELb0ELb1EEEvPKT0_S38_T1_PT2_T3_T4_T5_iT6_T7_T8_T9_T10_T11_, .Lfunc_end3-_ZN2ck16tensor_operation6device12_GLOBAL__N_137kernel_grouped_conv_fwd_dl_multiple_dINS_32GridwiseGemmDlMultipleD_km_kn_mnILi256EaiNS_5TupleIJaEEEaNS0_12element_wise11PassThroughES8_NS7_7AddReluELNS_25InMemoryDataOperationEnumE0ENS_16TensorDescriptorINS5_IJNS_5EmbedINS5_IJiiiEEESD_Lb0EEENS_11PassThroughIiEENS_3PadIiiiLb0EEESG_SG_NSC_INS5_IJiiEEESJ_Lb0EEESG_NS_23Merge_v2_magic_divisionISJ_EESM_NS_8RightPadIiiLb0EEESO_NS_7UnMergeISJ_Lb0EEESG_EEENS5_IJNS_8SequenceIJLi0EEEENSS_IJLi1EEEENSS_IJLi2EEEENSS_IJLi3EEEENSS_IJLi4EEEENSS_IJLi5EEEENSS_IJLi6EEEENSS_IJLi7ELi9EEEENSS_IJLi8ELi10EEEENSS_IJLi11EEEENSS_IJLi12EEEENSS_IJLi14EEEENSS_IJLi13EEEEEEENS5_IJNSS_IJLi1ELi2ELi3EEEESX_SY_SZ_NSS_IJLi7EEEENSS_IJLi8ELi9EEEENSS_IJLi10EEEES12_S13_S15_S14_NSS_IJLi15ELi16EEEENSS_IJLi17EEEEEEENSS_IJLi15ELi17ELi16EEEElEENSB_INS5_IJSQ_SO_SO_SQ_SG_EEENS5_IJST_SU_SV_SX_SW_EEENS5_IJNSS_IJLi1ELi2EEEESW_SX_NSS_IJLi5ELi6EEEES18_EEENSS_IJLi5ELi7ELi6EEEElEENSB_INS5_IJSK_SO_SO_EEENS5_IJST_SU_SV_EEENS5_IJS1I_SW_SX_EEENSS_IJLi3ELi4EEEElEELi128ELi128ELi16ELi4ELi4ELi4ELi1ENSS_IJLi8ELi2EEEES1S_NSS_IJLi8ELi1ELi1ELi4EEEENSS_IJLi2ELi1ELi128ELi1EEEENSS_IJLi1ELi2ELi0ELi3EEEES1V_NSS_IJLi4ELi1ELi1ELi4EEEES1V_NSS_IJLi1ELi1ELi1ELi4EEEES1T_S1U_S1V_S1V_S1W_S1V_S1X_NSS_IJLi0ELi1ELi2ELi3ELi4ELi5EEEELi5ELi4EEEaNS5_IJPKaEEEaS8_S8_S9_NSB_INS5_IJSE_SG_SI_SG_SG_SK_SG_SM_SM_SO_SO_SQ_SG_SG_NSP_INS5_IJiNS_17integral_constantIiLi128EEEEEELb0EEENSF_INS23_IiLi4EEEEEEEENS5_IJST_SU_SV_SW_SX_SY_SZ_S10_S11_S12_S13_S14_S15_NSS_IJLi15EEEES1C_NSS_IJLi16EEEEEEENS5_IJS17_SX_SY_SZ_S18_S19_S1A_S12_S13_S15_S14_S1B_S1C_NSS_IJLi18EEEENSS_IJLi19ELi20EEEENSS_IJLi21EEEEEEENSS_IJLi18ELi19ELi20ELi21EEEElEENSB_INS5_IJSQ_SO_SO_SQ_SG_SG_S26_S28_EEENS5_IJST_SU_SV_SX_SW_SY_S18_SZ_EEENS5_IJS1I_SW_SX_S1J_S18_NSS_IJLi8EEEENSS_IJLi9ELi10EEEES12_EEENSS_IJLi8ELi9ELi10ELi11EEEElEENS5_IJNSB_INS5_IJSK_SO_SO_NSP_INS5_IJiNS23_IiLi2EEENS23_IiLi64EEEEEELb0EEES2T_EEENS5_IJST_SU_SV_SW_SX_EEENS5_IJS1I_SW_SX_NSS_IJLi5ELi6ELi7EEEENSS_IJLi8ELi9ELi10EEEEEEENSS_IJLi5ELi6ELi7ELi8ELi9ELi10EEEElEEEEES30_NS_31BlockToCTileMap_M00_N00_M01_N01ILi128ELi128ES1R_Lb0EEENS1_30ComputePtrOffsetOfStridedBatchILi1ELi1ELi1EvEELb0ELb1EEEvPKT0_S38_T1_PT2_T3_T4_T5_iT6_T7_T8_T9_T10_T11_
                                        ; -- End function
	.set _ZN2ck16tensor_operation6device12_GLOBAL__N_137kernel_grouped_conv_fwd_dl_multiple_dINS_32GridwiseGemmDlMultipleD_km_kn_mnILi256EaiNS_5TupleIJaEEEaNS0_12element_wise11PassThroughES8_NS7_7AddReluELNS_25InMemoryDataOperationEnumE0ENS_16TensorDescriptorINS5_IJNS_5EmbedINS5_IJiiiEEESD_Lb0EEENS_11PassThroughIiEENS_3PadIiiiLb0EEESG_SG_NSC_INS5_IJiiEEESJ_Lb0EEESG_NS_23Merge_v2_magic_divisionISJ_EESM_NS_8RightPadIiiLb0EEESO_NS_7UnMergeISJ_Lb0EEESG_EEENS5_IJNS_8SequenceIJLi0EEEENSS_IJLi1EEEENSS_IJLi2EEEENSS_IJLi3EEEENSS_IJLi4EEEENSS_IJLi5EEEENSS_IJLi6EEEENSS_IJLi7ELi9EEEENSS_IJLi8ELi10EEEENSS_IJLi11EEEENSS_IJLi12EEEENSS_IJLi14EEEENSS_IJLi13EEEEEEENS5_IJNSS_IJLi1ELi2ELi3EEEESX_SY_SZ_NSS_IJLi7EEEENSS_IJLi8ELi9EEEENSS_IJLi10EEEES12_S13_S15_S14_NSS_IJLi15ELi16EEEENSS_IJLi17EEEEEEENSS_IJLi15ELi17ELi16EEEElEENSB_INS5_IJSQ_SO_SO_SQ_SG_EEENS5_IJST_SU_SV_SX_SW_EEENS5_IJNSS_IJLi1ELi2EEEESW_SX_NSS_IJLi5ELi6EEEES18_EEENSS_IJLi5ELi7ELi6EEEElEENSB_INS5_IJSK_SO_SO_EEENS5_IJST_SU_SV_EEENS5_IJS1I_SW_SX_EEENSS_IJLi3ELi4EEEElEELi128ELi128ELi16ELi4ELi4ELi4ELi1ENSS_IJLi8ELi2EEEES1S_NSS_IJLi8ELi1ELi1ELi4EEEENSS_IJLi2ELi1ELi128ELi1EEEENSS_IJLi1ELi2ELi0ELi3EEEES1V_NSS_IJLi4ELi1ELi1ELi4EEEES1V_NSS_IJLi1ELi1ELi1ELi4EEEES1T_S1U_S1V_S1V_S1W_S1V_S1X_NSS_IJLi0ELi1ELi2ELi3ELi4ELi5EEEELi5ELi4EEEaNS5_IJPKaEEEaS8_S8_S9_NSB_INS5_IJSE_SG_SI_SG_SG_SK_SG_SM_SM_SO_SO_SQ_SG_SG_NSP_INS5_IJiNS_17integral_constantIiLi128EEEEEELb0EEENSF_INS23_IiLi4EEEEEEEENS5_IJST_SU_SV_SW_SX_SY_SZ_S10_S11_S12_S13_S14_S15_NSS_IJLi15EEEES1C_NSS_IJLi16EEEEEEENS5_IJS17_SX_SY_SZ_S18_S19_S1A_S12_S13_S15_S14_S1B_S1C_NSS_IJLi18EEEENSS_IJLi19ELi20EEEENSS_IJLi21EEEEEEENSS_IJLi18ELi19ELi20ELi21EEEElEENSB_INS5_IJSQ_SO_SO_SQ_SG_SG_S26_S28_EEENS5_IJST_SU_SV_SX_SW_SY_S18_SZ_EEENS5_IJS1I_SW_SX_S1J_S18_NSS_IJLi8EEEENSS_IJLi9ELi10EEEES12_EEENSS_IJLi8ELi9ELi10ELi11EEEElEENS5_IJNSB_INS5_IJSK_SO_SO_NSP_INS5_IJiNS23_IiLi2EEENS23_IiLi64EEEEEELb0EEES2T_EEENS5_IJST_SU_SV_SW_SX_EEENS5_IJS1I_SW_SX_NSS_IJLi5ELi6ELi7EEEENSS_IJLi8ELi9ELi10EEEEEEENSS_IJLi5ELi6ELi7ELi8ELi9ELi10EEEElEEEEES30_NS_31BlockToCTileMap_M00_N00_M01_N01ILi128ELi128ES1R_Lb0EEENS1_30ComputePtrOffsetOfStridedBatchILi1ELi1ELi1EvEELb0ELb1EEEvPKT0_S38_T1_PT2_T3_T4_T5_iT6_T7_T8_T9_T10_T11_.num_vgpr, 189
	.set _ZN2ck16tensor_operation6device12_GLOBAL__N_137kernel_grouped_conv_fwd_dl_multiple_dINS_32GridwiseGemmDlMultipleD_km_kn_mnILi256EaiNS_5TupleIJaEEEaNS0_12element_wise11PassThroughES8_NS7_7AddReluELNS_25InMemoryDataOperationEnumE0ENS_16TensorDescriptorINS5_IJNS_5EmbedINS5_IJiiiEEESD_Lb0EEENS_11PassThroughIiEENS_3PadIiiiLb0EEESG_SG_NSC_INS5_IJiiEEESJ_Lb0EEESG_NS_23Merge_v2_magic_divisionISJ_EESM_NS_8RightPadIiiLb0EEESO_NS_7UnMergeISJ_Lb0EEESG_EEENS5_IJNS_8SequenceIJLi0EEEENSS_IJLi1EEEENSS_IJLi2EEEENSS_IJLi3EEEENSS_IJLi4EEEENSS_IJLi5EEEENSS_IJLi6EEEENSS_IJLi7ELi9EEEENSS_IJLi8ELi10EEEENSS_IJLi11EEEENSS_IJLi12EEEENSS_IJLi14EEEENSS_IJLi13EEEEEEENS5_IJNSS_IJLi1ELi2ELi3EEEESX_SY_SZ_NSS_IJLi7EEEENSS_IJLi8ELi9EEEENSS_IJLi10EEEES12_S13_S15_S14_NSS_IJLi15ELi16EEEENSS_IJLi17EEEEEEENSS_IJLi15ELi17ELi16EEEElEENSB_INS5_IJSQ_SO_SO_SQ_SG_EEENS5_IJST_SU_SV_SX_SW_EEENS5_IJNSS_IJLi1ELi2EEEESW_SX_NSS_IJLi5ELi6EEEES18_EEENSS_IJLi5ELi7ELi6EEEElEENSB_INS5_IJSK_SO_SO_EEENS5_IJST_SU_SV_EEENS5_IJS1I_SW_SX_EEENSS_IJLi3ELi4EEEElEELi128ELi128ELi16ELi4ELi4ELi4ELi1ENSS_IJLi8ELi2EEEES1S_NSS_IJLi8ELi1ELi1ELi4EEEENSS_IJLi2ELi1ELi128ELi1EEEENSS_IJLi1ELi2ELi0ELi3EEEES1V_NSS_IJLi4ELi1ELi1ELi4EEEES1V_NSS_IJLi1ELi1ELi1ELi4EEEES1T_S1U_S1V_S1V_S1W_S1V_S1X_NSS_IJLi0ELi1ELi2ELi3ELi4ELi5EEEELi5ELi4EEEaNS5_IJPKaEEEaS8_S8_S9_NSB_INS5_IJSE_SG_SI_SG_SG_SK_SG_SM_SM_SO_SO_SQ_SG_SG_NSP_INS5_IJiNS_17integral_constantIiLi128EEEEEELb0EEENSF_INS23_IiLi4EEEEEEEENS5_IJST_SU_SV_SW_SX_SY_SZ_S10_S11_S12_S13_S14_S15_NSS_IJLi15EEEES1C_NSS_IJLi16EEEEEEENS5_IJS17_SX_SY_SZ_S18_S19_S1A_S12_S13_S15_S14_S1B_S1C_NSS_IJLi18EEEENSS_IJLi19ELi20EEEENSS_IJLi21EEEEEEENSS_IJLi18ELi19ELi20ELi21EEEElEENSB_INS5_IJSQ_SO_SO_SQ_SG_SG_S26_S28_EEENS5_IJST_SU_SV_SX_SW_SY_S18_SZ_EEENS5_IJS1I_SW_SX_S1J_S18_NSS_IJLi8EEEENSS_IJLi9ELi10EEEES12_EEENSS_IJLi8ELi9ELi10ELi11EEEElEENS5_IJNSB_INS5_IJSK_SO_SO_NSP_INS5_IJiNS23_IiLi2EEENS23_IiLi64EEEEEELb0EEES2T_EEENS5_IJST_SU_SV_SW_SX_EEENS5_IJS1I_SW_SX_NSS_IJLi5ELi6ELi7EEEENSS_IJLi8ELi9ELi10EEEEEEENSS_IJLi5ELi6ELi7ELi8ELi9ELi10EEEElEEEEES30_NS_31BlockToCTileMap_M00_N00_M01_N01ILi128ELi128ES1R_Lb0EEENS1_30ComputePtrOffsetOfStridedBatchILi1ELi1ELi1EvEELb0ELb1EEEvPKT0_S38_T1_PT2_T3_T4_T5_iT6_T7_T8_T9_T10_T11_.num_agpr, 0
	.set _ZN2ck16tensor_operation6device12_GLOBAL__N_137kernel_grouped_conv_fwd_dl_multiple_dINS_32GridwiseGemmDlMultipleD_km_kn_mnILi256EaiNS_5TupleIJaEEEaNS0_12element_wise11PassThroughES8_NS7_7AddReluELNS_25InMemoryDataOperationEnumE0ENS_16TensorDescriptorINS5_IJNS_5EmbedINS5_IJiiiEEESD_Lb0EEENS_11PassThroughIiEENS_3PadIiiiLb0EEESG_SG_NSC_INS5_IJiiEEESJ_Lb0EEESG_NS_23Merge_v2_magic_divisionISJ_EESM_NS_8RightPadIiiLb0EEESO_NS_7UnMergeISJ_Lb0EEESG_EEENS5_IJNS_8SequenceIJLi0EEEENSS_IJLi1EEEENSS_IJLi2EEEENSS_IJLi3EEEENSS_IJLi4EEEENSS_IJLi5EEEENSS_IJLi6EEEENSS_IJLi7ELi9EEEENSS_IJLi8ELi10EEEENSS_IJLi11EEEENSS_IJLi12EEEENSS_IJLi14EEEENSS_IJLi13EEEEEEENS5_IJNSS_IJLi1ELi2ELi3EEEESX_SY_SZ_NSS_IJLi7EEEENSS_IJLi8ELi9EEEENSS_IJLi10EEEES12_S13_S15_S14_NSS_IJLi15ELi16EEEENSS_IJLi17EEEEEEENSS_IJLi15ELi17ELi16EEEElEENSB_INS5_IJSQ_SO_SO_SQ_SG_EEENS5_IJST_SU_SV_SX_SW_EEENS5_IJNSS_IJLi1ELi2EEEESW_SX_NSS_IJLi5ELi6EEEES18_EEENSS_IJLi5ELi7ELi6EEEElEENSB_INS5_IJSK_SO_SO_EEENS5_IJST_SU_SV_EEENS5_IJS1I_SW_SX_EEENSS_IJLi3ELi4EEEElEELi128ELi128ELi16ELi4ELi4ELi4ELi1ENSS_IJLi8ELi2EEEES1S_NSS_IJLi8ELi1ELi1ELi4EEEENSS_IJLi2ELi1ELi128ELi1EEEENSS_IJLi1ELi2ELi0ELi3EEEES1V_NSS_IJLi4ELi1ELi1ELi4EEEES1V_NSS_IJLi1ELi1ELi1ELi4EEEES1T_S1U_S1V_S1V_S1W_S1V_S1X_NSS_IJLi0ELi1ELi2ELi3ELi4ELi5EEEELi5ELi4EEEaNS5_IJPKaEEEaS8_S8_S9_NSB_INS5_IJSE_SG_SI_SG_SG_SK_SG_SM_SM_SO_SO_SQ_SG_SG_NSP_INS5_IJiNS_17integral_constantIiLi128EEEEEELb0EEENSF_INS23_IiLi4EEEEEEEENS5_IJST_SU_SV_SW_SX_SY_SZ_S10_S11_S12_S13_S14_S15_NSS_IJLi15EEEES1C_NSS_IJLi16EEEEEEENS5_IJS17_SX_SY_SZ_S18_S19_S1A_S12_S13_S15_S14_S1B_S1C_NSS_IJLi18EEEENSS_IJLi19ELi20EEEENSS_IJLi21EEEEEEENSS_IJLi18ELi19ELi20ELi21EEEElEENSB_INS5_IJSQ_SO_SO_SQ_SG_SG_S26_S28_EEENS5_IJST_SU_SV_SX_SW_SY_S18_SZ_EEENS5_IJS1I_SW_SX_S1J_S18_NSS_IJLi8EEEENSS_IJLi9ELi10EEEES12_EEENSS_IJLi8ELi9ELi10ELi11EEEElEENS5_IJNSB_INS5_IJSK_SO_SO_NSP_INS5_IJiNS23_IiLi2EEENS23_IiLi64EEEEEELb0EEES2T_EEENS5_IJST_SU_SV_SW_SX_EEENS5_IJS1I_SW_SX_NSS_IJLi5ELi6ELi7EEEENSS_IJLi8ELi9ELi10EEEEEEENSS_IJLi5ELi6ELi7ELi8ELi9ELi10EEEElEEEEES30_NS_31BlockToCTileMap_M00_N00_M01_N01ILi128ELi128ES1R_Lb0EEENS1_30ComputePtrOffsetOfStridedBatchILi1ELi1ELi1EvEELb0ELb1EEEvPKT0_S38_T1_PT2_T3_T4_T5_iT6_T7_T8_T9_T10_T11_.numbered_sgpr, 61
	.set _ZN2ck16tensor_operation6device12_GLOBAL__N_137kernel_grouped_conv_fwd_dl_multiple_dINS_32GridwiseGemmDlMultipleD_km_kn_mnILi256EaiNS_5TupleIJaEEEaNS0_12element_wise11PassThroughES8_NS7_7AddReluELNS_25InMemoryDataOperationEnumE0ENS_16TensorDescriptorINS5_IJNS_5EmbedINS5_IJiiiEEESD_Lb0EEENS_11PassThroughIiEENS_3PadIiiiLb0EEESG_SG_NSC_INS5_IJiiEEESJ_Lb0EEESG_NS_23Merge_v2_magic_divisionISJ_EESM_NS_8RightPadIiiLb0EEESO_NS_7UnMergeISJ_Lb0EEESG_EEENS5_IJNS_8SequenceIJLi0EEEENSS_IJLi1EEEENSS_IJLi2EEEENSS_IJLi3EEEENSS_IJLi4EEEENSS_IJLi5EEEENSS_IJLi6EEEENSS_IJLi7ELi9EEEENSS_IJLi8ELi10EEEENSS_IJLi11EEEENSS_IJLi12EEEENSS_IJLi14EEEENSS_IJLi13EEEEEEENS5_IJNSS_IJLi1ELi2ELi3EEEESX_SY_SZ_NSS_IJLi7EEEENSS_IJLi8ELi9EEEENSS_IJLi10EEEES12_S13_S15_S14_NSS_IJLi15ELi16EEEENSS_IJLi17EEEEEEENSS_IJLi15ELi17ELi16EEEElEENSB_INS5_IJSQ_SO_SO_SQ_SG_EEENS5_IJST_SU_SV_SX_SW_EEENS5_IJNSS_IJLi1ELi2EEEESW_SX_NSS_IJLi5ELi6EEEES18_EEENSS_IJLi5ELi7ELi6EEEElEENSB_INS5_IJSK_SO_SO_EEENS5_IJST_SU_SV_EEENS5_IJS1I_SW_SX_EEENSS_IJLi3ELi4EEEElEELi128ELi128ELi16ELi4ELi4ELi4ELi1ENSS_IJLi8ELi2EEEES1S_NSS_IJLi8ELi1ELi1ELi4EEEENSS_IJLi2ELi1ELi128ELi1EEEENSS_IJLi1ELi2ELi0ELi3EEEES1V_NSS_IJLi4ELi1ELi1ELi4EEEES1V_NSS_IJLi1ELi1ELi1ELi4EEEES1T_S1U_S1V_S1V_S1W_S1V_S1X_NSS_IJLi0ELi1ELi2ELi3ELi4ELi5EEEELi5ELi4EEEaNS5_IJPKaEEEaS8_S8_S9_NSB_INS5_IJSE_SG_SI_SG_SG_SK_SG_SM_SM_SO_SO_SQ_SG_SG_NSP_INS5_IJiNS_17integral_constantIiLi128EEEEEELb0EEENSF_INS23_IiLi4EEEEEEEENS5_IJST_SU_SV_SW_SX_SY_SZ_S10_S11_S12_S13_S14_S15_NSS_IJLi15EEEES1C_NSS_IJLi16EEEEEEENS5_IJS17_SX_SY_SZ_S18_S19_S1A_S12_S13_S15_S14_S1B_S1C_NSS_IJLi18EEEENSS_IJLi19ELi20EEEENSS_IJLi21EEEEEEENSS_IJLi18ELi19ELi20ELi21EEEElEENSB_INS5_IJSQ_SO_SO_SQ_SG_SG_S26_S28_EEENS5_IJST_SU_SV_SX_SW_SY_S18_SZ_EEENS5_IJS1I_SW_SX_S1J_S18_NSS_IJLi8EEEENSS_IJLi9ELi10EEEES12_EEENSS_IJLi8ELi9ELi10ELi11EEEElEENS5_IJNSB_INS5_IJSK_SO_SO_NSP_INS5_IJiNS23_IiLi2EEENS23_IiLi64EEEEEELb0EEES2T_EEENS5_IJST_SU_SV_SW_SX_EEENS5_IJS1I_SW_SX_NSS_IJLi5ELi6ELi7EEEENSS_IJLi8ELi9ELi10EEEEEEENSS_IJLi5ELi6ELi7ELi8ELi9ELi10EEEElEEEEES30_NS_31BlockToCTileMap_M00_N00_M01_N01ILi128ELi128ES1R_Lb0EEENS1_30ComputePtrOffsetOfStridedBatchILi1ELi1ELi1EvEELb0ELb1EEEvPKT0_S38_T1_PT2_T3_T4_T5_iT6_T7_T8_T9_T10_T11_.num_named_barrier, 0
	.set _ZN2ck16tensor_operation6device12_GLOBAL__N_137kernel_grouped_conv_fwd_dl_multiple_dINS_32GridwiseGemmDlMultipleD_km_kn_mnILi256EaiNS_5TupleIJaEEEaNS0_12element_wise11PassThroughES8_NS7_7AddReluELNS_25InMemoryDataOperationEnumE0ENS_16TensorDescriptorINS5_IJNS_5EmbedINS5_IJiiiEEESD_Lb0EEENS_11PassThroughIiEENS_3PadIiiiLb0EEESG_SG_NSC_INS5_IJiiEEESJ_Lb0EEESG_NS_23Merge_v2_magic_divisionISJ_EESM_NS_8RightPadIiiLb0EEESO_NS_7UnMergeISJ_Lb0EEESG_EEENS5_IJNS_8SequenceIJLi0EEEENSS_IJLi1EEEENSS_IJLi2EEEENSS_IJLi3EEEENSS_IJLi4EEEENSS_IJLi5EEEENSS_IJLi6EEEENSS_IJLi7ELi9EEEENSS_IJLi8ELi10EEEENSS_IJLi11EEEENSS_IJLi12EEEENSS_IJLi14EEEENSS_IJLi13EEEEEEENS5_IJNSS_IJLi1ELi2ELi3EEEESX_SY_SZ_NSS_IJLi7EEEENSS_IJLi8ELi9EEEENSS_IJLi10EEEES12_S13_S15_S14_NSS_IJLi15ELi16EEEENSS_IJLi17EEEEEEENSS_IJLi15ELi17ELi16EEEElEENSB_INS5_IJSQ_SO_SO_SQ_SG_EEENS5_IJST_SU_SV_SX_SW_EEENS5_IJNSS_IJLi1ELi2EEEESW_SX_NSS_IJLi5ELi6EEEES18_EEENSS_IJLi5ELi7ELi6EEEElEENSB_INS5_IJSK_SO_SO_EEENS5_IJST_SU_SV_EEENS5_IJS1I_SW_SX_EEENSS_IJLi3ELi4EEEElEELi128ELi128ELi16ELi4ELi4ELi4ELi1ENSS_IJLi8ELi2EEEES1S_NSS_IJLi8ELi1ELi1ELi4EEEENSS_IJLi2ELi1ELi128ELi1EEEENSS_IJLi1ELi2ELi0ELi3EEEES1V_NSS_IJLi4ELi1ELi1ELi4EEEES1V_NSS_IJLi1ELi1ELi1ELi4EEEES1T_S1U_S1V_S1V_S1W_S1V_S1X_NSS_IJLi0ELi1ELi2ELi3ELi4ELi5EEEELi5ELi4EEEaNS5_IJPKaEEEaS8_S8_S9_NSB_INS5_IJSE_SG_SI_SG_SG_SK_SG_SM_SM_SO_SO_SQ_SG_SG_NSP_INS5_IJiNS_17integral_constantIiLi128EEEEEELb0EEENSF_INS23_IiLi4EEEEEEEENS5_IJST_SU_SV_SW_SX_SY_SZ_S10_S11_S12_S13_S14_S15_NSS_IJLi15EEEES1C_NSS_IJLi16EEEEEEENS5_IJS17_SX_SY_SZ_S18_S19_S1A_S12_S13_S15_S14_S1B_S1C_NSS_IJLi18EEEENSS_IJLi19ELi20EEEENSS_IJLi21EEEEEEENSS_IJLi18ELi19ELi20ELi21EEEElEENSB_INS5_IJSQ_SO_SO_SQ_SG_SG_S26_S28_EEENS5_IJST_SU_SV_SX_SW_SY_S18_SZ_EEENS5_IJS1I_SW_SX_S1J_S18_NSS_IJLi8EEEENSS_IJLi9ELi10EEEES12_EEENSS_IJLi8ELi9ELi10ELi11EEEElEENS5_IJNSB_INS5_IJSK_SO_SO_NSP_INS5_IJiNS23_IiLi2EEENS23_IiLi64EEEEEELb0EEES2T_EEENS5_IJST_SU_SV_SW_SX_EEENS5_IJS1I_SW_SX_NSS_IJLi5ELi6ELi7EEEENSS_IJLi8ELi9ELi10EEEEEEENSS_IJLi5ELi6ELi7ELi8ELi9ELi10EEEElEEEEES30_NS_31BlockToCTileMap_M00_N00_M01_N01ILi128ELi128ES1R_Lb0EEENS1_30ComputePtrOffsetOfStridedBatchILi1ELi1ELi1EvEELb0ELb1EEEvPKT0_S38_T1_PT2_T3_T4_T5_iT6_T7_T8_T9_T10_T11_.private_seg_size, 0
	.set _ZN2ck16tensor_operation6device12_GLOBAL__N_137kernel_grouped_conv_fwd_dl_multiple_dINS_32GridwiseGemmDlMultipleD_km_kn_mnILi256EaiNS_5TupleIJaEEEaNS0_12element_wise11PassThroughES8_NS7_7AddReluELNS_25InMemoryDataOperationEnumE0ENS_16TensorDescriptorINS5_IJNS_5EmbedINS5_IJiiiEEESD_Lb0EEENS_11PassThroughIiEENS_3PadIiiiLb0EEESG_SG_NSC_INS5_IJiiEEESJ_Lb0EEESG_NS_23Merge_v2_magic_divisionISJ_EESM_NS_8RightPadIiiLb0EEESO_NS_7UnMergeISJ_Lb0EEESG_EEENS5_IJNS_8SequenceIJLi0EEEENSS_IJLi1EEEENSS_IJLi2EEEENSS_IJLi3EEEENSS_IJLi4EEEENSS_IJLi5EEEENSS_IJLi6EEEENSS_IJLi7ELi9EEEENSS_IJLi8ELi10EEEENSS_IJLi11EEEENSS_IJLi12EEEENSS_IJLi14EEEENSS_IJLi13EEEEEEENS5_IJNSS_IJLi1ELi2ELi3EEEESX_SY_SZ_NSS_IJLi7EEEENSS_IJLi8ELi9EEEENSS_IJLi10EEEES12_S13_S15_S14_NSS_IJLi15ELi16EEEENSS_IJLi17EEEEEEENSS_IJLi15ELi17ELi16EEEElEENSB_INS5_IJSQ_SO_SO_SQ_SG_EEENS5_IJST_SU_SV_SX_SW_EEENS5_IJNSS_IJLi1ELi2EEEESW_SX_NSS_IJLi5ELi6EEEES18_EEENSS_IJLi5ELi7ELi6EEEElEENSB_INS5_IJSK_SO_SO_EEENS5_IJST_SU_SV_EEENS5_IJS1I_SW_SX_EEENSS_IJLi3ELi4EEEElEELi128ELi128ELi16ELi4ELi4ELi4ELi1ENSS_IJLi8ELi2EEEES1S_NSS_IJLi8ELi1ELi1ELi4EEEENSS_IJLi2ELi1ELi128ELi1EEEENSS_IJLi1ELi2ELi0ELi3EEEES1V_NSS_IJLi4ELi1ELi1ELi4EEEES1V_NSS_IJLi1ELi1ELi1ELi4EEEES1T_S1U_S1V_S1V_S1W_S1V_S1X_NSS_IJLi0ELi1ELi2ELi3ELi4ELi5EEEELi5ELi4EEEaNS5_IJPKaEEEaS8_S8_S9_NSB_INS5_IJSE_SG_SI_SG_SG_SK_SG_SM_SM_SO_SO_SQ_SG_SG_NSP_INS5_IJiNS_17integral_constantIiLi128EEEEEELb0EEENSF_INS23_IiLi4EEEEEEEENS5_IJST_SU_SV_SW_SX_SY_SZ_S10_S11_S12_S13_S14_S15_NSS_IJLi15EEEES1C_NSS_IJLi16EEEEEEENS5_IJS17_SX_SY_SZ_S18_S19_S1A_S12_S13_S15_S14_S1B_S1C_NSS_IJLi18EEEENSS_IJLi19ELi20EEEENSS_IJLi21EEEEEEENSS_IJLi18ELi19ELi20ELi21EEEElEENSB_INS5_IJSQ_SO_SO_SQ_SG_SG_S26_S28_EEENS5_IJST_SU_SV_SX_SW_SY_S18_SZ_EEENS5_IJS1I_SW_SX_S1J_S18_NSS_IJLi8EEEENSS_IJLi9ELi10EEEES12_EEENSS_IJLi8ELi9ELi10ELi11EEEElEENS5_IJNSB_INS5_IJSK_SO_SO_NSP_INS5_IJiNS23_IiLi2EEENS23_IiLi64EEEEEELb0EEES2T_EEENS5_IJST_SU_SV_SW_SX_EEENS5_IJS1I_SW_SX_NSS_IJLi5ELi6ELi7EEEENSS_IJLi8ELi9ELi10EEEEEEENSS_IJLi5ELi6ELi7ELi8ELi9ELi10EEEElEEEEES30_NS_31BlockToCTileMap_M00_N00_M01_N01ILi128ELi128ES1R_Lb0EEENS1_30ComputePtrOffsetOfStridedBatchILi1ELi1ELi1EvEELb0ELb1EEEvPKT0_S38_T1_PT2_T3_T4_T5_iT6_T7_T8_T9_T10_T11_.uses_vcc, 1
	.set _ZN2ck16tensor_operation6device12_GLOBAL__N_137kernel_grouped_conv_fwd_dl_multiple_dINS_32GridwiseGemmDlMultipleD_km_kn_mnILi256EaiNS_5TupleIJaEEEaNS0_12element_wise11PassThroughES8_NS7_7AddReluELNS_25InMemoryDataOperationEnumE0ENS_16TensorDescriptorINS5_IJNS_5EmbedINS5_IJiiiEEESD_Lb0EEENS_11PassThroughIiEENS_3PadIiiiLb0EEESG_SG_NSC_INS5_IJiiEEESJ_Lb0EEESG_NS_23Merge_v2_magic_divisionISJ_EESM_NS_8RightPadIiiLb0EEESO_NS_7UnMergeISJ_Lb0EEESG_EEENS5_IJNS_8SequenceIJLi0EEEENSS_IJLi1EEEENSS_IJLi2EEEENSS_IJLi3EEEENSS_IJLi4EEEENSS_IJLi5EEEENSS_IJLi6EEEENSS_IJLi7ELi9EEEENSS_IJLi8ELi10EEEENSS_IJLi11EEEENSS_IJLi12EEEENSS_IJLi14EEEENSS_IJLi13EEEEEEENS5_IJNSS_IJLi1ELi2ELi3EEEESX_SY_SZ_NSS_IJLi7EEEENSS_IJLi8ELi9EEEENSS_IJLi10EEEES12_S13_S15_S14_NSS_IJLi15ELi16EEEENSS_IJLi17EEEEEEENSS_IJLi15ELi17ELi16EEEElEENSB_INS5_IJSQ_SO_SO_SQ_SG_EEENS5_IJST_SU_SV_SX_SW_EEENS5_IJNSS_IJLi1ELi2EEEESW_SX_NSS_IJLi5ELi6EEEES18_EEENSS_IJLi5ELi7ELi6EEEElEENSB_INS5_IJSK_SO_SO_EEENS5_IJST_SU_SV_EEENS5_IJS1I_SW_SX_EEENSS_IJLi3ELi4EEEElEELi128ELi128ELi16ELi4ELi4ELi4ELi1ENSS_IJLi8ELi2EEEES1S_NSS_IJLi8ELi1ELi1ELi4EEEENSS_IJLi2ELi1ELi128ELi1EEEENSS_IJLi1ELi2ELi0ELi3EEEES1V_NSS_IJLi4ELi1ELi1ELi4EEEES1V_NSS_IJLi1ELi1ELi1ELi4EEEES1T_S1U_S1V_S1V_S1W_S1V_S1X_NSS_IJLi0ELi1ELi2ELi3ELi4ELi5EEEELi5ELi4EEEaNS5_IJPKaEEEaS8_S8_S9_NSB_INS5_IJSE_SG_SI_SG_SG_SK_SG_SM_SM_SO_SO_SQ_SG_SG_NSP_INS5_IJiNS_17integral_constantIiLi128EEEEEELb0EEENSF_INS23_IiLi4EEEEEEEENS5_IJST_SU_SV_SW_SX_SY_SZ_S10_S11_S12_S13_S14_S15_NSS_IJLi15EEEES1C_NSS_IJLi16EEEEEEENS5_IJS17_SX_SY_SZ_S18_S19_S1A_S12_S13_S15_S14_S1B_S1C_NSS_IJLi18EEEENSS_IJLi19ELi20EEEENSS_IJLi21EEEEEEENSS_IJLi18ELi19ELi20ELi21EEEElEENSB_INS5_IJSQ_SO_SO_SQ_SG_SG_S26_S28_EEENS5_IJST_SU_SV_SX_SW_SY_S18_SZ_EEENS5_IJS1I_SW_SX_S1J_S18_NSS_IJLi8EEEENSS_IJLi9ELi10EEEES12_EEENSS_IJLi8ELi9ELi10ELi11EEEElEENS5_IJNSB_INS5_IJSK_SO_SO_NSP_INS5_IJiNS23_IiLi2EEENS23_IiLi64EEEEEELb0EEES2T_EEENS5_IJST_SU_SV_SW_SX_EEENS5_IJS1I_SW_SX_NSS_IJLi5ELi6ELi7EEEENSS_IJLi8ELi9ELi10EEEEEEENSS_IJLi5ELi6ELi7ELi8ELi9ELi10EEEElEEEEES30_NS_31BlockToCTileMap_M00_N00_M01_N01ILi128ELi128ES1R_Lb0EEENS1_30ComputePtrOffsetOfStridedBatchILi1ELi1ELi1EvEELb0ELb1EEEvPKT0_S38_T1_PT2_T3_T4_T5_iT6_T7_T8_T9_T10_T11_.uses_flat_scratch, 0
	.set _ZN2ck16tensor_operation6device12_GLOBAL__N_137kernel_grouped_conv_fwd_dl_multiple_dINS_32GridwiseGemmDlMultipleD_km_kn_mnILi256EaiNS_5TupleIJaEEEaNS0_12element_wise11PassThroughES8_NS7_7AddReluELNS_25InMemoryDataOperationEnumE0ENS_16TensorDescriptorINS5_IJNS_5EmbedINS5_IJiiiEEESD_Lb0EEENS_11PassThroughIiEENS_3PadIiiiLb0EEESG_SG_NSC_INS5_IJiiEEESJ_Lb0EEESG_NS_23Merge_v2_magic_divisionISJ_EESM_NS_8RightPadIiiLb0EEESO_NS_7UnMergeISJ_Lb0EEESG_EEENS5_IJNS_8SequenceIJLi0EEEENSS_IJLi1EEEENSS_IJLi2EEEENSS_IJLi3EEEENSS_IJLi4EEEENSS_IJLi5EEEENSS_IJLi6EEEENSS_IJLi7ELi9EEEENSS_IJLi8ELi10EEEENSS_IJLi11EEEENSS_IJLi12EEEENSS_IJLi14EEEENSS_IJLi13EEEEEEENS5_IJNSS_IJLi1ELi2ELi3EEEESX_SY_SZ_NSS_IJLi7EEEENSS_IJLi8ELi9EEEENSS_IJLi10EEEES12_S13_S15_S14_NSS_IJLi15ELi16EEEENSS_IJLi17EEEEEEENSS_IJLi15ELi17ELi16EEEElEENSB_INS5_IJSQ_SO_SO_SQ_SG_EEENS5_IJST_SU_SV_SX_SW_EEENS5_IJNSS_IJLi1ELi2EEEESW_SX_NSS_IJLi5ELi6EEEES18_EEENSS_IJLi5ELi7ELi6EEEElEENSB_INS5_IJSK_SO_SO_EEENS5_IJST_SU_SV_EEENS5_IJS1I_SW_SX_EEENSS_IJLi3ELi4EEEElEELi128ELi128ELi16ELi4ELi4ELi4ELi1ENSS_IJLi8ELi2EEEES1S_NSS_IJLi8ELi1ELi1ELi4EEEENSS_IJLi2ELi1ELi128ELi1EEEENSS_IJLi1ELi2ELi0ELi3EEEES1V_NSS_IJLi4ELi1ELi1ELi4EEEES1V_NSS_IJLi1ELi1ELi1ELi4EEEES1T_S1U_S1V_S1V_S1W_S1V_S1X_NSS_IJLi0ELi1ELi2ELi3ELi4ELi5EEEELi5ELi4EEEaNS5_IJPKaEEEaS8_S8_S9_NSB_INS5_IJSE_SG_SI_SG_SG_SK_SG_SM_SM_SO_SO_SQ_SG_SG_NSP_INS5_IJiNS_17integral_constantIiLi128EEEEEELb0EEENSF_INS23_IiLi4EEEEEEEENS5_IJST_SU_SV_SW_SX_SY_SZ_S10_S11_S12_S13_S14_S15_NSS_IJLi15EEEES1C_NSS_IJLi16EEEEEEENS5_IJS17_SX_SY_SZ_S18_S19_S1A_S12_S13_S15_S14_S1B_S1C_NSS_IJLi18EEEENSS_IJLi19ELi20EEEENSS_IJLi21EEEEEEENSS_IJLi18ELi19ELi20ELi21EEEElEENSB_INS5_IJSQ_SO_SO_SQ_SG_SG_S26_S28_EEENS5_IJST_SU_SV_SX_SW_SY_S18_SZ_EEENS5_IJS1I_SW_SX_S1J_S18_NSS_IJLi8EEEENSS_IJLi9ELi10EEEES12_EEENSS_IJLi8ELi9ELi10ELi11EEEElEENS5_IJNSB_INS5_IJSK_SO_SO_NSP_INS5_IJiNS23_IiLi2EEENS23_IiLi64EEEEEELb0EEES2T_EEENS5_IJST_SU_SV_SW_SX_EEENS5_IJS1I_SW_SX_NSS_IJLi5ELi6ELi7EEEENSS_IJLi8ELi9ELi10EEEEEEENSS_IJLi5ELi6ELi7ELi8ELi9ELi10EEEElEEEEES30_NS_31BlockToCTileMap_M00_N00_M01_N01ILi128ELi128ES1R_Lb0EEENS1_30ComputePtrOffsetOfStridedBatchILi1ELi1ELi1EvEELb0ELb1EEEvPKT0_S38_T1_PT2_T3_T4_T5_iT6_T7_T8_T9_T10_T11_.has_dyn_sized_stack, 0
	.set _ZN2ck16tensor_operation6device12_GLOBAL__N_137kernel_grouped_conv_fwd_dl_multiple_dINS_32GridwiseGemmDlMultipleD_km_kn_mnILi256EaiNS_5TupleIJaEEEaNS0_12element_wise11PassThroughES8_NS7_7AddReluELNS_25InMemoryDataOperationEnumE0ENS_16TensorDescriptorINS5_IJNS_5EmbedINS5_IJiiiEEESD_Lb0EEENS_11PassThroughIiEENS_3PadIiiiLb0EEESG_SG_NSC_INS5_IJiiEEESJ_Lb0EEESG_NS_23Merge_v2_magic_divisionISJ_EESM_NS_8RightPadIiiLb0EEESO_NS_7UnMergeISJ_Lb0EEESG_EEENS5_IJNS_8SequenceIJLi0EEEENSS_IJLi1EEEENSS_IJLi2EEEENSS_IJLi3EEEENSS_IJLi4EEEENSS_IJLi5EEEENSS_IJLi6EEEENSS_IJLi7ELi9EEEENSS_IJLi8ELi10EEEENSS_IJLi11EEEENSS_IJLi12EEEENSS_IJLi14EEEENSS_IJLi13EEEEEEENS5_IJNSS_IJLi1ELi2ELi3EEEESX_SY_SZ_NSS_IJLi7EEEENSS_IJLi8ELi9EEEENSS_IJLi10EEEES12_S13_S15_S14_NSS_IJLi15ELi16EEEENSS_IJLi17EEEEEEENSS_IJLi15ELi17ELi16EEEElEENSB_INS5_IJSQ_SO_SO_SQ_SG_EEENS5_IJST_SU_SV_SX_SW_EEENS5_IJNSS_IJLi1ELi2EEEESW_SX_NSS_IJLi5ELi6EEEES18_EEENSS_IJLi5ELi7ELi6EEEElEENSB_INS5_IJSK_SO_SO_EEENS5_IJST_SU_SV_EEENS5_IJS1I_SW_SX_EEENSS_IJLi3ELi4EEEElEELi128ELi128ELi16ELi4ELi4ELi4ELi1ENSS_IJLi8ELi2EEEES1S_NSS_IJLi8ELi1ELi1ELi4EEEENSS_IJLi2ELi1ELi128ELi1EEEENSS_IJLi1ELi2ELi0ELi3EEEES1V_NSS_IJLi4ELi1ELi1ELi4EEEES1V_NSS_IJLi1ELi1ELi1ELi4EEEES1T_S1U_S1V_S1V_S1W_S1V_S1X_NSS_IJLi0ELi1ELi2ELi3ELi4ELi5EEEELi5ELi4EEEaNS5_IJPKaEEEaS8_S8_S9_NSB_INS5_IJSE_SG_SI_SG_SG_SK_SG_SM_SM_SO_SO_SQ_SG_SG_NSP_INS5_IJiNS_17integral_constantIiLi128EEEEEELb0EEENSF_INS23_IiLi4EEEEEEEENS5_IJST_SU_SV_SW_SX_SY_SZ_S10_S11_S12_S13_S14_S15_NSS_IJLi15EEEES1C_NSS_IJLi16EEEEEEENS5_IJS17_SX_SY_SZ_S18_S19_S1A_S12_S13_S15_S14_S1B_S1C_NSS_IJLi18EEEENSS_IJLi19ELi20EEEENSS_IJLi21EEEEEEENSS_IJLi18ELi19ELi20ELi21EEEElEENSB_INS5_IJSQ_SO_SO_SQ_SG_SG_S26_S28_EEENS5_IJST_SU_SV_SX_SW_SY_S18_SZ_EEENS5_IJS1I_SW_SX_S1J_S18_NSS_IJLi8EEEENSS_IJLi9ELi10EEEES12_EEENSS_IJLi8ELi9ELi10ELi11EEEElEENS5_IJNSB_INS5_IJSK_SO_SO_NSP_INS5_IJiNS23_IiLi2EEENS23_IiLi64EEEEEELb0EEES2T_EEENS5_IJST_SU_SV_SW_SX_EEENS5_IJS1I_SW_SX_NSS_IJLi5ELi6ELi7EEEENSS_IJLi8ELi9ELi10EEEEEEENSS_IJLi5ELi6ELi7ELi8ELi9ELi10EEEElEEEEES30_NS_31BlockToCTileMap_M00_N00_M01_N01ILi128ELi128ES1R_Lb0EEENS1_30ComputePtrOffsetOfStridedBatchILi1ELi1ELi1EvEELb0ELb1EEEvPKT0_S38_T1_PT2_T3_T4_T5_iT6_T7_T8_T9_T10_T11_.has_recursion, 0
	.set _ZN2ck16tensor_operation6device12_GLOBAL__N_137kernel_grouped_conv_fwd_dl_multiple_dINS_32GridwiseGemmDlMultipleD_km_kn_mnILi256EaiNS_5TupleIJaEEEaNS0_12element_wise11PassThroughES8_NS7_7AddReluELNS_25InMemoryDataOperationEnumE0ENS_16TensorDescriptorINS5_IJNS_5EmbedINS5_IJiiiEEESD_Lb0EEENS_11PassThroughIiEENS_3PadIiiiLb0EEESG_SG_NSC_INS5_IJiiEEESJ_Lb0EEESG_NS_23Merge_v2_magic_divisionISJ_EESM_NS_8RightPadIiiLb0EEESO_NS_7UnMergeISJ_Lb0EEESG_EEENS5_IJNS_8SequenceIJLi0EEEENSS_IJLi1EEEENSS_IJLi2EEEENSS_IJLi3EEEENSS_IJLi4EEEENSS_IJLi5EEEENSS_IJLi6EEEENSS_IJLi7ELi9EEEENSS_IJLi8ELi10EEEENSS_IJLi11EEEENSS_IJLi12EEEENSS_IJLi14EEEENSS_IJLi13EEEEEEENS5_IJNSS_IJLi1ELi2ELi3EEEESX_SY_SZ_NSS_IJLi7EEEENSS_IJLi8ELi9EEEENSS_IJLi10EEEES12_S13_S15_S14_NSS_IJLi15ELi16EEEENSS_IJLi17EEEEEEENSS_IJLi15ELi17ELi16EEEElEENSB_INS5_IJSQ_SO_SO_SQ_SG_EEENS5_IJST_SU_SV_SX_SW_EEENS5_IJNSS_IJLi1ELi2EEEESW_SX_NSS_IJLi5ELi6EEEES18_EEENSS_IJLi5ELi7ELi6EEEElEENSB_INS5_IJSK_SO_SO_EEENS5_IJST_SU_SV_EEENS5_IJS1I_SW_SX_EEENSS_IJLi3ELi4EEEElEELi128ELi128ELi16ELi4ELi4ELi4ELi1ENSS_IJLi8ELi2EEEES1S_NSS_IJLi8ELi1ELi1ELi4EEEENSS_IJLi2ELi1ELi128ELi1EEEENSS_IJLi1ELi2ELi0ELi3EEEES1V_NSS_IJLi4ELi1ELi1ELi4EEEES1V_NSS_IJLi1ELi1ELi1ELi4EEEES1T_S1U_S1V_S1V_S1W_S1V_S1X_NSS_IJLi0ELi1ELi2ELi3ELi4ELi5EEEELi5ELi4EEEaNS5_IJPKaEEEaS8_S8_S9_NSB_INS5_IJSE_SG_SI_SG_SG_SK_SG_SM_SM_SO_SO_SQ_SG_SG_NSP_INS5_IJiNS_17integral_constantIiLi128EEEEEELb0EEENSF_INS23_IiLi4EEEEEEEENS5_IJST_SU_SV_SW_SX_SY_SZ_S10_S11_S12_S13_S14_S15_NSS_IJLi15EEEES1C_NSS_IJLi16EEEEEEENS5_IJS17_SX_SY_SZ_S18_S19_S1A_S12_S13_S15_S14_S1B_S1C_NSS_IJLi18EEEENSS_IJLi19ELi20EEEENSS_IJLi21EEEEEEENSS_IJLi18ELi19ELi20ELi21EEEElEENSB_INS5_IJSQ_SO_SO_SQ_SG_SG_S26_S28_EEENS5_IJST_SU_SV_SX_SW_SY_S18_SZ_EEENS5_IJS1I_SW_SX_S1J_S18_NSS_IJLi8EEEENSS_IJLi9ELi10EEEES12_EEENSS_IJLi8ELi9ELi10ELi11EEEElEENS5_IJNSB_INS5_IJSK_SO_SO_NSP_INS5_IJiNS23_IiLi2EEENS23_IiLi64EEEEEELb0EEES2T_EEENS5_IJST_SU_SV_SW_SX_EEENS5_IJS1I_SW_SX_NSS_IJLi5ELi6ELi7EEEENSS_IJLi8ELi9ELi10EEEEEEENSS_IJLi5ELi6ELi7ELi8ELi9ELi10EEEElEEEEES30_NS_31BlockToCTileMap_M00_N00_M01_N01ILi128ELi128ES1R_Lb0EEENS1_30ComputePtrOffsetOfStridedBatchILi1ELi1ELi1EvEELb0ELb1EEEvPKT0_S38_T1_PT2_T3_T4_T5_iT6_T7_T8_T9_T10_T11_.has_indirect_call, 0
	.section	.AMDGPU.csdata,"",@progbits
; Kernel info:
; codeLenInByte = 23752
; TotalNumSgprs: 63
; NumVgprs: 189
; ScratchSize: 0
; MemoryBound: 0
; FloatMode: 240
; IeeeMode: 1
; LDSByteSize: 32768 bytes/workgroup (compile time only)
; SGPRBlocks: 0
; VGPRBlocks: 23
; NumSGPRsForWavesPerEU: 63
; NumVGPRsForWavesPerEU: 189
; Occupancy: 8
; WaveLimiterHint : 0
; COMPUTE_PGM_RSRC2:SCRATCH_EN: 0
; COMPUTE_PGM_RSRC2:USER_SGPR: 2
; COMPUTE_PGM_RSRC2:TRAP_HANDLER: 0
; COMPUTE_PGM_RSRC2:TGID_X_EN: 1
; COMPUTE_PGM_RSRC2:TGID_Y_EN: 0
; COMPUTE_PGM_RSRC2:TGID_Z_EN: 0
; COMPUTE_PGM_RSRC2:TIDIG_COMP_CNT: 0
	.section	.text._ZN2ck16tensor_operation6device12_GLOBAL__N_137kernel_grouped_conv_fwd_dl_multiple_dINS_32GridwiseGemmDlMultipleD_km_kn_mnILi256EaiNS_5TupleIJaEEEaNS0_12element_wise11PassThroughES8_NS7_7AddReluELNS_25InMemoryDataOperationEnumE0ENS_16TensorDescriptorINS5_IJNS_5EmbedINS5_IJiiiEEESD_Lb0EEENS_11PassThroughIiEENS_3PadIiiiLb0EEESG_SG_NSC_INS5_IJiiEEESJ_Lb0EEESG_NS_23Merge_v2_magic_divisionISJ_EESM_NS_8RightPadIiiLb0EEESO_NS_7UnMergeISJ_Lb0EEESG_EEENS5_IJNS_8SequenceIJLi0EEEENSS_IJLi1EEEENSS_IJLi2EEEENSS_IJLi3EEEENSS_IJLi4EEEENSS_IJLi5EEEENSS_IJLi6EEEENSS_IJLi7ELi9EEEENSS_IJLi8ELi10EEEENSS_IJLi11EEEENSS_IJLi12EEEENSS_IJLi14EEEENSS_IJLi13EEEEEEENS5_IJNSS_IJLi1ELi2ELi3EEEESX_SY_SZ_NSS_IJLi7EEEENSS_IJLi8ELi9EEEENSS_IJLi10EEEES12_S13_S15_S14_NSS_IJLi15ELi16EEEENSS_IJLi17EEEEEEENSS_IJLi15ELi17ELi16EEEElEENSB_INS5_IJSQ_SO_SO_SQ_SG_EEENS5_IJST_SU_SV_SX_SW_EEENS5_IJNSS_IJLi1ELi2EEEESW_SX_NSS_IJLi5ELi6EEEES18_EEENSS_IJLi5ELi7ELi6EEEElEENSB_INS5_IJSK_SO_SO_EEENS5_IJST_SU_SV_EEENS5_IJS1I_SW_SX_EEENSS_IJLi3ELi4EEEElEELi128ELi128ELi16ELi4ELi4ELi4ELi1ENSS_IJLi8ELi2EEEES1S_NSS_IJLi8ELi1ELi1ELi4EEEENSS_IJLi2ELi1ELi128ELi1EEEENSS_IJLi1ELi2ELi0ELi3EEEES1V_NSS_IJLi4ELi1ELi1ELi4EEEES1V_NSS_IJLi1ELi1ELi1ELi4EEEES1T_S1U_S1V_S1V_S1W_S1V_S1X_NSS_IJLi0ELi1ELi2ELi3ELi4ELi5EEEELi5ELi4EEEaNS5_IJPKaEEEaS8_S8_S9_NSB_INS5_IJSE_SG_SI_SG_SG_SK_SG_SM_SM_SO_SO_SQ_SG_SG_NSP_INS5_IJiNS_17integral_constantIiLi128EEEEEELb0EEENSF_INS23_IiLi4EEEEEEEENS5_IJST_SU_SV_SW_SX_SY_SZ_S10_S11_S12_S13_S14_S15_NSS_IJLi15EEEES1C_NSS_IJLi16EEEEEEENS5_IJS17_SX_SY_SZ_S18_S19_S1A_S12_S13_S15_S14_S1B_S1C_NSS_IJLi18EEEENSS_IJLi19ELi20EEEENSS_IJLi21EEEEEEENSS_IJLi18ELi19ELi20ELi21EEEElEENSB_INS5_IJSQ_SO_SO_SQ_SG_SG_S26_S28_EEENS5_IJST_SU_SV_SX_SW_SY_S18_SZ_EEENS5_IJS1I_SW_SX_S1J_S18_NSS_IJLi8EEEENSS_IJLi9ELi10EEEES12_EEENSS_IJLi8ELi9ELi10ELi11EEEElEENS5_IJNSB_INS5_IJSK_SO_SO_NSP_INS5_IJiNS23_IiLi2EEENS23_IiLi64EEEEEELb0EEES2T_EEENS5_IJST_SU_SV_SW_SX_EEENS5_IJS1I_SW_SX_NSS_IJLi5ELi6ELi7EEEENSS_IJLi8ELi9ELi10EEEEEEENSS_IJLi5ELi6ELi7ELi8ELi9ELi10EEEElEEEEES30_NS_31BlockToCTileMap_M00_N00_M01_N01ILi128ELi128ES1R_Lb0EEENS1_30ComputePtrOffsetOfStridedBatchILi1ELi1ELi1EvEELb0ELb0EEEvPKT0_S38_T1_PT2_T3_T4_T5_iT6_T7_T8_T9_T10_T11_,"axG",@progbits,_ZN2ck16tensor_operation6device12_GLOBAL__N_137kernel_grouped_conv_fwd_dl_multiple_dINS_32GridwiseGemmDlMultipleD_km_kn_mnILi256EaiNS_5TupleIJaEEEaNS0_12element_wise11PassThroughES8_NS7_7AddReluELNS_25InMemoryDataOperationEnumE0ENS_16TensorDescriptorINS5_IJNS_5EmbedINS5_IJiiiEEESD_Lb0EEENS_11PassThroughIiEENS_3PadIiiiLb0EEESG_SG_NSC_INS5_IJiiEEESJ_Lb0EEESG_NS_23Merge_v2_magic_divisionISJ_EESM_NS_8RightPadIiiLb0EEESO_NS_7UnMergeISJ_Lb0EEESG_EEENS5_IJNS_8SequenceIJLi0EEEENSS_IJLi1EEEENSS_IJLi2EEEENSS_IJLi3EEEENSS_IJLi4EEEENSS_IJLi5EEEENSS_IJLi6EEEENSS_IJLi7ELi9EEEENSS_IJLi8ELi10EEEENSS_IJLi11EEEENSS_IJLi12EEEENSS_IJLi14EEEENSS_IJLi13EEEEEEENS5_IJNSS_IJLi1ELi2ELi3EEEESX_SY_SZ_NSS_IJLi7EEEENSS_IJLi8ELi9EEEENSS_IJLi10EEEES12_S13_S15_S14_NSS_IJLi15ELi16EEEENSS_IJLi17EEEEEEENSS_IJLi15ELi17ELi16EEEElEENSB_INS5_IJSQ_SO_SO_SQ_SG_EEENS5_IJST_SU_SV_SX_SW_EEENS5_IJNSS_IJLi1ELi2EEEESW_SX_NSS_IJLi5ELi6EEEES18_EEENSS_IJLi5ELi7ELi6EEEElEENSB_INS5_IJSK_SO_SO_EEENS5_IJST_SU_SV_EEENS5_IJS1I_SW_SX_EEENSS_IJLi3ELi4EEEElEELi128ELi128ELi16ELi4ELi4ELi4ELi1ENSS_IJLi8ELi2EEEES1S_NSS_IJLi8ELi1ELi1ELi4EEEENSS_IJLi2ELi1ELi128ELi1EEEENSS_IJLi1ELi2ELi0ELi3EEEES1V_NSS_IJLi4ELi1ELi1ELi4EEEES1V_NSS_IJLi1ELi1ELi1ELi4EEEES1T_S1U_S1V_S1V_S1W_S1V_S1X_NSS_IJLi0ELi1ELi2ELi3ELi4ELi5EEEELi5ELi4EEEaNS5_IJPKaEEEaS8_S8_S9_NSB_INS5_IJSE_SG_SI_SG_SG_SK_SG_SM_SM_SO_SO_SQ_SG_SG_NSP_INS5_IJiNS_17integral_constantIiLi128EEEEEELb0EEENSF_INS23_IiLi4EEEEEEEENS5_IJST_SU_SV_SW_SX_SY_SZ_S10_S11_S12_S13_S14_S15_NSS_IJLi15EEEES1C_NSS_IJLi16EEEEEEENS5_IJS17_SX_SY_SZ_S18_S19_S1A_S12_S13_S15_S14_S1B_S1C_NSS_IJLi18EEEENSS_IJLi19ELi20EEEENSS_IJLi21EEEEEEENSS_IJLi18ELi19ELi20ELi21EEEElEENSB_INS5_IJSQ_SO_SO_SQ_SG_SG_S26_S28_EEENS5_IJST_SU_SV_SX_SW_SY_S18_SZ_EEENS5_IJS1I_SW_SX_S1J_S18_NSS_IJLi8EEEENSS_IJLi9ELi10EEEES12_EEENSS_IJLi8ELi9ELi10ELi11EEEElEENS5_IJNSB_INS5_IJSK_SO_SO_NSP_INS5_IJiNS23_IiLi2EEENS23_IiLi64EEEEEELb0EEES2T_EEENS5_IJST_SU_SV_SW_SX_EEENS5_IJS1I_SW_SX_NSS_IJLi5ELi6ELi7EEEENSS_IJLi8ELi9ELi10EEEEEEENSS_IJLi5ELi6ELi7ELi8ELi9ELi10EEEElEEEEES30_NS_31BlockToCTileMap_M00_N00_M01_N01ILi128ELi128ES1R_Lb0EEENS1_30ComputePtrOffsetOfStridedBatchILi1ELi1ELi1EvEELb0ELb0EEEvPKT0_S38_T1_PT2_T3_T4_T5_iT6_T7_T8_T9_T10_T11_,comdat
	.globl	_ZN2ck16tensor_operation6device12_GLOBAL__N_137kernel_grouped_conv_fwd_dl_multiple_dINS_32GridwiseGemmDlMultipleD_km_kn_mnILi256EaiNS_5TupleIJaEEEaNS0_12element_wise11PassThroughES8_NS7_7AddReluELNS_25InMemoryDataOperationEnumE0ENS_16TensorDescriptorINS5_IJNS_5EmbedINS5_IJiiiEEESD_Lb0EEENS_11PassThroughIiEENS_3PadIiiiLb0EEESG_SG_NSC_INS5_IJiiEEESJ_Lb0EEESG_NS_23Merge_v2_magic_divisionISJ_EESM_NS_8RightPadIiiLb0EEESO_NS_7UnMergeISJ_Lb0EEESG_EEENS5_IJNS_8SequenceIJLi0EEEENSS_IJLi1EEEENSS_IJLi2EEEENSS_IJLi3EEEENSS_IJLi4EEEENSS_IJLi5EEEENSS_IJLi6EEEENSS_IJLi7ELi9EEEENSS_IJLi8ELi10EEEENSS_IJLi11EEEENSS_IJLi12EEEENSS_IJLi14EEEENSS_IJLi13EEEEEEENS5_IJNSS_IJLi1ELi2ELi3EEEESX_SY_SZ_NSS_IJLi7EEEENSS_IJLi8ELi9EEEENSS_IJLi10EEEES12_S13_S15_S14_NSS_IJLi15ELi16EEEENSS_IJLi17EEEEEEENSS_IJLi15ELi17ELi16EEEElEENSB_INS5_IJSQ_SO_SO_SQ_SG_EEENS5_IJST_SU_SV_SX_SW_EEENS5_IJNSS_IJLi1ELi2EEEESW_SX_NSS_IJLi5ELi6EEEES18_EEENSS_IJLi5ELi7ELi6EEEElEENSB_INS5_IJSK_SO_SO_EEENS5_IJST_SU_SV_EEENS5_IJS1I_SW_SX_EEENSS_IJLi3ELi4EEEElEELi128ELi128ELi16ELi4ELi4ELi4ELi1ENSS_IJLi8ELi2EEEES1S_NSS_IJLi8ELi1ELi1ELi4EEEENSS_IJLi2ELi1ELi128ELi1EEEENSS_IJLi1ELi2ELi0ELi3EEEES1V_NSS_IJLi4ELi1ELi1ELi4EEEES1V_NSS_IJLi1ELi1ELi1ELi4EEEES1T_S1U_S1V_S1V_S1W_S1V_S1X_NSS_IJLi0ELi1ELi2ELi3ELi4ELi5EEEELi5ELi4EEEaNS5_IJPKaEEEaS8_S8_S9_NSB_INS5_IJSE_SG_SI_SG_SG_SK_SG_SM_SM_SO_SO_SQ_SG_SG_NSP_INS5_IJiNS_17integral_constantIiLi128EEEEEELb0EEENSF_INS23_IiLi4EEEEEEEENS5_IJST_SU_SV_SW_SX_SY_SZ_S10_S11_S12_S13_S14_S15_NSS_IJLi15EEEES1C_NSS_IJLi16EEEEEEENS5_IJS17_SX_SY_SZ_S18_S19_S1A_S12_S13_S15_S14_S1B_S1C_NSS_IJLi18EEEENSS_IJLi19ELi20EEEENSS_IJLi21EEEEEEENSS_IJLi18ELi19ELi20ELi21EEEElEENSB_INS5_IJSQ_SO_SO_SQ_SG_SG_S26_S28_EEENS5_IJST_SU_SV_SX_SW_SY_S18_SZ_EEENS5_IJS1I_SW_SX_S1J_S18_NSS_IJLi8EEEENSS_IJLi9ELi10EEEES12_EEENSS_IJLi8ELi9ELi10ELi11EEEElEENS5_IJNSB_INS5_IJSK_SO_SO_NSP_INS5_IJiNS23_IiLi2EEENS23_IiLi64EEEEEELb0EEES2T_EEENS5_IJST_SU_SV_SW_SX_EEENS5_IJS1I_SW_SX_NSS_IJLi5ELi6ELi7EEEENSS_IJLi8ELi9ELi10EEEEEEENSS_IJLi5ELi6ELi7ELi8ELi9ELi10EEEElEEEEES30_NS_31BlockToCTileMap_M00_N00_M01_N01ILi128ELi128ES1R_Lb0EEENS1_30ComputePtrOffsetOfStridedBatchILi1ELi1ELi1EvEELb0ELb0EEEvPKT0_S38_T1_PT2_T3_T4_T5_iT6_T7_T8_T9_T10_T11_ ; -- Begin function _ZN2ck16tensor_operation6device12_GLOBAL__N_137kernel_grouped_conv_fwd_dl_multiple_dINS_32GridwiseGemmDlMultipleD_km_kn_mnILi256EaiNS_5TupleIJaEEEaNS0_12element_wise11PassThroughES8_NS7_7AddReluELNS_25InMemoryDataOperationEnumE0ENS_16TensorDescriptorINS5_IJNS_5EmbedINS5_IJiiiEEESD_Lb0EEENS_11PassThroughIiEENS_3PadIiiiLb0EEESG_SG_NSC_INS5_IJiiEEESJ_Lb0EEESG_NS_23Merge_v2_magic_divisionISJ_EESM_NS_8RightPadIiiLb0EEESO_NS_7UnMergeISJ_Lb0EEESG_EEENS5_IJNS_8SequenceIJLi0EEEENSS_IJLi1EEEENSS_IJLi2EEEENSS_IJLi3EEEENSS_IJLi4EEEENSS_IJLi5EEEENSS_IJLi6EEEENSS_IJLi7ELi9EEEENSS_IJLi8ELi10EEEENSS_IJLi11EEEENSS_IJLi12EEEENSS_IJLi14EEEENSS_IJLi13EEEEEEENS5_IJNSS_IJLi1ELi2ELi3EEEESX_SY_SZ_NSS_IJLi7EEEENSS_IJLi8ELi9EEEENSS_IJLi10EEEES12_S13_S15_S14_NSS_IJLi15ELi16EEEENSS_IJLi17EEEEEEENSS_IJLi15ELi17ELi16EEEElEENSB_INS5_IJSQ_SO_SO_SQ_SG_EEENS5_IJST_SU_SV_SX_SW_EEENS5_IJNSS_IJLi1ELi2EEEESW_SX_NSS_IJLi5ELi6EEEES18_EEENSS_IJLi5ELi7ELi6EEEElEENSB_INS5_IJSK_SO_SO_EEENS5_IJST_SU_SV_EEENS5_IJS1I_SW_SX_EEENSS_IJLi3ELi4EEEElEELi128ELi128ELi16ELi4ELi4ELi4ELi1ENSS_IJLi8ELi2EEEES1S_NSS_IJLi8ELi1ELi1ELi4EEEENSS_IJLi2ELi1ELi128ELi1EEEENSS_IJLi1ELi2ELi0ELi3EEEES1V_NSS_IJLi4ELi1ELi1ELi4EEEES1V_NSS_IJLi1ELi1ELi1ELi4EEEES1T_S1U_S1V_S1V_S1W_S1V_S1X_NSS_IJLi0ELi1ELi2ELi3ELi4ELi5EEEELi5ELi4EEEaNS5_IJPKaEEEaS8_S8_S9_NSB_INS5_IJSE_SG_SI_SG_SG_SK_SG_SM_SM_SO_SO_SQ_SG_SG_NSP_INS5_IJiNS_17integral_constantIiLi128EEEEEELb0EEENSF_INS23_IiLi4EEEEEEEENS5_IJST_SU_SV_SW_SX_SY_SZ_S10_S11_S12_S13_S14_S15_NSS_IJLi15EEEES1C_NSS_IJLi16EEEEEEENS5_IJS17_SX_SY_SZ_S18_S19_S1A_S12_S13_S15_S14_S1B_S1C_NSS_IJLi18EEEENSS_IJLi19ELi20EEEENSS_IJLi21EEEEEEENSS_IJLi18ELi19ELi20ELi21EEEElEENSB_INS5_IJSQ_SO_SO_SQ_SG_SG_S26_S28_EEENS5_IJST_SU_SV_SX_SW_SY_S18_SZ_EEENS5_IJS1I_SW_SX_S1J_S18_NSS_IJLi8EEEENSS_IJLi9ELi10EEEES12_EEENSS_IJLi8ELi9ELi10ELi11EEEElEENS5_IJNSB_INS5_IJSK_SO_SO_NSP_INS5_IJiNS23_IiLi2EEENS23_IiLi64EEEEEELb0EEES2T_EEENS5_IJST_SU_SV_SW_SX_EEENS5_IJS1I_SW_SX_NSS_IJLi5ELi6ELi7EEEENSS_IJLi8ELi9ELi10EEEEEEENSS_IJLi5ELi6ELi7ELi8ELi9ELi10EEEElEEEEES30_NS_31BlockToCTileMap_M00_N00_M01_N01ILi128ELi128ES1R_Lb0EEENS1_30ComputePtrOffsetOfStridedBatchILi1ELi1ELi1EvEELb0ELb0EEEvPKT0_S38_T1_PT2_T3_T4_T5_iT6_T7_T8_T9_T10_T11_
	.p2align	8
	.type	_ZN2ck16tensor_operation6device12_GLOBAL__N_137kernel_grouped_conv_fwd_dl_multiple_dINS_32GridwiseGemmDlMultipleD_km_kn_mnILi256EaiNS_5TupleIJaEEEaNS0_12element_wise11PassThroughES8_NS7_7AddReluELNS_25InMemoryDataOperationEnumE0ENS_16TensorDescriptorINS5_IJNS_5EmbedINS5_IJiiiEEESD_Lb0EEENS_11PassThroughIiEENS_3PadIiiiLb0EEESG_SG_NSC_INS5_IJiiEEESJ_Lb0EEESG_NS_23Merge_v2_magic_divisionISJ_EESM_NS_8RightPadIiiLb0EEESO_NS_7UnMergeISJ_Lb0EEESG_EEENS5_IJNS_8SequenceIJLi0EEEENSS_IJLi1EEEENSS_IJLi2EEEENSS_IJLi3EEEENSS_IJLi4EEEENSS_IJLi5EEEENSS_IJLi6EEEENSS_IJLi7ELi9EEEENSS_IJLi8ELi10EEEENSS_IJLi11EEEENSS_IJLi12EEEENSS_IJLi14EEEENSS_IJLi13EEEEEEENS5_IJNSS_IJLi1ELi2ELi3EEEESX_SY_SZ_NSS_IJLi7EEEENSS_IJLi8ELi9EEEENSS_IJLi10EEEES12_S13_S15_S14_NSS_IJLi15ELi16EEEENSS_IJLi17EEEEEEENSS_IJLi15ELi17ELi16EEEElEENSB_INS5_IJSQ_SO_SO_SQ_SG_EEENS5_IJST_SU_SV_SX_SW_EEENS5_IJNSS_IJLi1ELi2EEEESW_SX_NSS_IJLi5ELi6EEEES18_EEENSS_IJLi5ELi7ELi6EEEElEENSB_INS5_IJSK_SO_SO_EEENS5_IJST_SU_SV_EEENS5_IJS1I_SW_SX_EEENSS_IJLi3ELi4EEEElEELi128ELi128ELi16ELi4ELi4ELi4ELi1ENSS_IJLi8ELi2EEEES1S_NSS_IJLi8ELi1ELi1ELi4EEEENSS_IJLi2ELi1ELi128ELi1EEEENSS_IJLi1ELi2ELi0ELi3EEEES1V_NSS_IJLi4ELi1ELi1ELi4EEEES1V_NSS_IJLi1ELi1ELi1ELi4EEEES1T_S1U_S1V_S1V_S1W_S1V_S1X_NSS_IJLi0ELi1ELi2ELi3ELi4ELi5EEEELi5ELi4EEEaNS5_IJPKaEEEaS8_S8_S9_NSB_INS5_IJSE_SG_SI_SG_SG_SK_SG_SM_SM_SO_SO_SQ_SG_SG_NSP_INS5_IJiNS_17integral_constantIiLi128EEEEEELb0EEENSF_INS23_IiLi4EEEEEEEENS5_IJST_SU_SV_SW_SX_SY_SZ_S10_S11_S12_S13_S14_S15_NSS_IJLi15EEEES1C_NSS_IJLi16EEEEEEENS5_IJS17_SX_SY_SZ_S18_S19_S1A_S12_S13_S15_S14_S1B_S1C_NSS_IJLi18EEEENSS_IJLi19ELi20EEEENSS_IJLi21EEEEEEENSS_IJLi18ELi19ELi20ELi21EEEElEENSB_INS5_IJSQ_SO_SO_SQ_SG_SG_S26_S28_EEENS5_IJST_SU_SV_SX_SW_SY_S18_SZ_EEENS5_IJS1I_SW_SX_S1J_S18_NSS_IJLi8EEEENSS_IJLi9ELi10EEEES12_EEENSS_IJLi8ELi9ELi10ELi11EEEElEENS5_IJNSB_INS5_IJSK_SO_SO_NSP_INS5_IJiNS23_IiLi2EEENS23_IiLi64EEEEEELb0EEES2T_EEENS5_IJST_SU_SV_SW_SX_EEENS5_IJS1I_SW_SX_NSS_IJLi5ELi6ELi7EEEENSS_IJLi8ELi9ELi10EEEEEEENSS_IJLi5ELi6ELi7ELi8ELi9ELi10EEEElEEEEES30_NS_31BlockToCTileMap_M00_N00_M01_N01ILi128ELi128ES1R_Lb0EEENS1_30ComputePtrOffsetOfStridedBatchILi1ELi1ELi1EvEELb0ELb0EEEvPKT0_S38_T1_PT2_T3_T4_T5_iT6_T7_T8_T9_T10_T11_,@function
_ZN2ck16tensor_operation6device12_GLOBAL__N_137kernel_grouped_conv_fwd_dl_multiple_dINS_32GridwiseGemmDlMultipleD_km_kn_mnILi256EaiNS_5TupleIJaEEEaNS0_12element_wise11PassThroughES8_NS7_7AddReluELNS_25InMemoryDataOperationEnumE0ENS_16TensorDescriptorINS5_IJNS_5EmbedINS5_IJiiiEEESD_Lb0EEENS_11PassThroughIiEENS_3PadIiiiLb0EEESG_SG_NSC_INS5_IJiiEEESJ_Lb0EEESG_NS_23Merge_v2_magic_divisionISJ_EESM_NS_8RightPadIiiLb0EEESO_NS_7UnMergeISJ_Lb0EEESG_EEENS5_IJNS_8SequenceIJLi0EEEENSS_IJLi1EEEENSS_IJLi2EEEENSS_IJLi3EEEENSS_IJLi4EEEENSS_IJLi5EEEENSS_IJLi6EEEENSS_IJLi7ELi9EEEENSS_IJLi8ELi10EEEENSS_IJLi11EEEENSS_IJLi12EEEENSS_IJLi14EEEENSS_IJLi13EEEEEEENS5_IJNSS_IJLi1ELi2ELi3EEEESX_SY_SZ_NSS_IJLi7EEEENSS_IJLi8ELi9EEEENSS_IJLi10EEEES12_S13_S15_S14_NSS_IJLi15ELi16EEEENSS_IJLi17EEEEEEENSS_IJLi15ELi17ELi16EEEElEENSB_INS5_IJSQ_SO_SO_SQ_SG_EEENS5_IJST_SU_SV_SX_SW_EEENS5_IJNSS_IJLi1ELi2EEEESW_SX_NSS_IJLi5ELi6EEEES18_EEENSS_IJLi5ELi7ELi6EEEElEENSB_INS5_IJSK_SO_SO_EEENS5_IJST_SU_SV_EEENS5_IJS1I_SW_SX_EEENSS_IJLi3ELi4EEEElEELi128ELi128ELi16ELi4ELi4ELi4ELi1ENSS_IJLi8ELi2EEEES1S_NSS_IJLi8ELi1ELi1ELi4EEEENSS_IJLi2ELi1ELi128ELi1EEEENSS_IJLi1ELi2ELi0ELi3EEEES1V_NSS_IJLi4ELi1ELi1ELi4EEEES1V_NSS_IJLi1ELi1ELi1ELi4EEEES1T_S1U_S1V_S1V_S1W_S1V_S1X_NSS_IJLi0ELi1ELi2ELi3ELi4ELi5EEEELi5ELi4EEEaNS5_IJPKaEEEaS8_S8_S9_NSB_INS5_IJSE_SG_SI_SG_SG_SK_SG_SM_SM_SO_SO_SQ_SG_SG_NSP_INS5_IJiNS_17integral_constantIiLi128EEEEEELb0EEENSF_INS23_IiLi4EEEEEEEENS5_IJST_SU_SV_SW_SX_SY_SZ_S10_S11_S12_S13_S14_S15_NSS_IJLi15EEEES1C_NSS_IJLi16EEEEEEENS5_IJS17_SX_SY_SZ_S18_S19_S1A_S12_S13_S15_S14_S1B_S1C_NSS_IJLi18EEEENSS_IJLi19ELi20EEEENSS_IJLi21EEEEEEENSS_IJLi18ELi19ELi20ELi21EEEElEENSB_INS5_IJSQ_SO_SO_SQ_SG_SG_S26_S28_EEENS5_IJST_SU_SV_SX_SW_SY_S18_SZ_EEENS5_IJS1I_SW_SX_S1J_S18_NSS_IJLi8EEEENSS_IJLi9ELi10EEEES12_EEENSS_IJLi8ELi9ELi10ELi11EEEElEENS5_IJNSB_INS5_IJSK_SO_SO_NSP_INS5_IJiNS23_IiLi2EEENS23_IiLi64EEEEEELb0EEES2T_EEENS5_IJST_SU_SV_SW_SX_EEENS5_IJS1I_SW_SX_NSS_IJLi5ELi6ELi7EEEENSS_IJLi8ELi9ELi10EEEEEEENSS_IJLi5ELi6ELi7ELi8ELi9ELi10EEEElEEEEES30_NS_31BlockToCTileMap_M00_N00_M01_N01ILi128ELi128ES1R_Lb0EEENS1_30ComputePtrOffsetOfStridedBatchILi1ELi1ELi1EvEELb0ELb0EEEvPKT0_S38_T1_PT2_T3_T4_T5_iT6_T7_T8_T9_T10_T11_: ; @_ZN2ck16tensor_operation6device12_GLOBAL__N_137kernel_grouped_conv_fwd_dl_multiple_dINS_32GridwiseGemmDlMultipleD_km_kn_mnILi256EaiNS_5TupleIJaEEEaNS0_12element_wise11PassThroughES8_NS7_7AddReluELNS_25InMemoryDataOperationEnumE0ENS_16TensorDescriptorINS5_IJNS_5EmbedINS5_IJiiiEEESD_Lb0EEENS_11PassThroughIiEENS_3PadIiiiLb0EEESG_SG_NSC_INS5_IJiiEEESJ_Lb0EEESG_NS_23Merge_v2_magic_divisionISJ_EESM_NS_8RightPadIiiLb0EEESO_NS_7UnMergeISJ_Lb0EEESG_EEENS5_IJNS_8SequenceIJLi0EEEENSS_IJLi1EEEENSS_IJLi2EEEENSS_IJLi3EEEENSS_IJLi4EEEENSS_IJLi5EEEENSS_IJLi6EEEENSS_IJLi7ELi9EEEENSS_IJLi8ELi10EEEENSS_IJLi11EEEENSS_IJLi12EEEENSS_IJLi14EEEENSS_IJLi13EEEEEEENS5_IJNSS_IJLi1ELi2ELi3EEEESX_SY_SZ_NSS_IJLi7EEEENSS_IJLi8ELi9EEEENSS_IJLi10EEEES12_S13_S15_S14_NSS_IJLi15ELi16EEEENSS_IJLi17EEEEEEENSS_IJLi15ELi17ELi16EEEElEENSB_INS5_IJSQ_SO_SO_SQ_SG_EEENS5_IJST_SU_SV_SX_SW_EEENS5_IJNSS_IJLi1ELi2EEEESW_SX_NSS_IJLi5ELi6EEEES18_EEENSS_IJLi5ELi7ELi6EEEElEENSB_INS5_IJSK_SO_SO_EEENS5_IJST_SU_SV_EEENS5_IJS1I_SW_SX_EEENSS_IJLi3ELi4EEEElEELi128ELi128ELi16ELi4ELi4ELi4ELi1ENSS_IJLi8ELi2EEEES1S_NSS_IJLi8ELi1ELi1ELi4EEEENSS_IJLi2ELi1ELi128ELi1EEEENSS_IJLi1ELi2ELi0ELi3EEEES1V_NSS_IJLi4ELi1ELi1ELi4EEEES1V_NSS_IJLi1ELi1ELi1ELi4EEEES1T_S1U_S1V_S1V_S1W_S1V_S1X_NSS_IJLi0ELi1ELi2ELi3ELi4ELi5EEEELi5ELi4EEEaNS5_IJPKaEEEaS8_S8_S9_NSB_INS5_IJSE_SG_SI_SG_SG_SK_SG_SM_SM_SO_SO_SQ_SG_SG_NSP_INS5_IJiNS_17integral_constantIiLi128EEEEEELb0EEENSF_INS23_IiLi4EEEEEEEENS5_IJST_SU_SV_SW_SX_SY_SZ_S10_S11_S12_S13_S14_S15_NSS_IJLi15EEEES1C_NSS_IJLi16EEEEEEENS5_IJS17_SX_SY_SZ_S18_S19_S1A_S12_S13_S15_S14_S1B_S1C_NSS_IJLi18EEEENSS_IJLi19ELi20EEEENSS_IJLi21EEEEEEENSS_IJLi18ELi19ELi20ELi21EEEElEENSB_INS5_IJSQ_SO_SO_SQ_SG_SG_S26_S28_EEENS5_IJST_SU_SV_SX_SW_SY_S18_SZ_EEENS5_IJS1I_SW_SX_S1J_S18_NSS_IJLi8EEEENSS_IJLi9ELi10EEEES12_EEENSS_IJLi8ELi9ELi10ELi11EEEElEENS5_IJNSB_INS5_IJSK_SO_SO_NSP_INS5_IJiNS23_IiLi2EEENS23_IiLi64EEEEEELb0EEES2T_EEENS5_IJST_SU_SV_SW_SX_EEENS5_IJS1I_SW_SX_NSS_IJLi5ELi6ELi7EEEENSS_IJLi8ELi9ELi10EEEEEEENSS_IJLi5ELi6ELi7ELi8ELi9ELi10EEEElEEEEES30_NS_31BlockToCTileMap_M00_N00_M01_N01ILi128ELi128ES1R_Lb0EEENS1_30ComputePtrOffsetOfStridedBatchILi1ELi1ELi1EvEELb0ELb0EEEvPKT0_S38_T1_PT2_T3_T4_T5_iT6_T7_T8_T9_T10_T11_
; %bb.0:
	s_clause 0x5
	s_load_b32 s2, s[0:1], 0x24
	s_load_b96 s[36:38], s[0:1], 0x34
	s_load_b64 s[28:29], s[0:1], 0x60
	s_load_b32 s50, s[0:1], 0x214
	s_load_b32 s49, s[0:1], 0x120
	s_load_b128 s[12:15], s[0:1], 0x248
	v_lshrrev_b32_e32 v26, 1, v0
	s_mov_b32 s23, 0x31004000
	s_wait_kmcnt 0x0
	s_abs_i32 s3, s2
	s_delay_alu instid0(SALU_CYCLE_1) | instskip(SKIP_1) | instid1(SALU_CYCLE_2)
	s_cvt_f32_u32 s4, s3
	s_sub_co_i32 s6, 0, s3
	v_rcp_iflag_f32_e32 v1, s4
	s_load_b32 s4, s[0:1], 0x288
	s_delay_alu instid0(TRANS32_DEP_1) | instskip(SKIP_2) | instid1(SALU_CYCLE_2)
	v_readfirstlane_b32 s5, v1
	s_mul_f32 s5, s5, 0x4f7ffffe
	s_wait_alu 0xfffe
	s_cvt_u32_f32 s5, s5
	s_wait_kmcnt 0x0
	s_abs_i32 s7, s4
	s_xor_b32 s2, s4, s2
	s_wait_alu 0xfffe
	s_mul_i32 s6, s6, s5
	s_ashr_i32 s2, s2, 31
	s_mul_hi_u32 s6, s5, s6
	s_delay_alu instid0(SALU_CYCLE_1)
	s_add_co_i32 s5, s5, s6
	s_wait_alu 0xfffe
	s_mul_hi_u32 s5, s7, s5
	s_wait_alu 0xfffe
	s_mul_i32 s4, s5, s3
	s_add_co_i32 s6, s5, 1
	s_wait_alu 0xfffe
	s_sub_co_i32 s4, s7, s4
	s_wait_alu 0xfffe
	s_sub_co_i32 s7, s4, s3
	s_cmp_ge_u32 s4, s3
	s_cselect_b32 s5, s6, s5
	s_cselect_b32 s4, s7, s4
	s_wait_alu 0xfffe
	s_add_co_i32 s6, s5, 1
	s_cmp_ge_u32 s4, s3
	s_cselect_b32 s3, s6, s5
	s_abs_i32 s8, ttmp9
	s_xor_b32 s3, s3, s2
	s_delay_alu instid0(SALU_CYCLE_1)
	s_sub_co_i32 s4, s3, s2
	s_wait_alu 0xfffe
	s_abs_i32 s5, s4
	s_xor_b32 s4, ttmp9, s4
	s_wait_alu 0xfffe
	s_cvt_f32_u32 s2, s5
	s_sub_co_i32 s7, 0, s5
	s_ashr_i32 s44, s4, 31
	s_delay_alu instid0(SALU_CYCLE_1) | instskip(NEXT) | instid1(TRANS32_DEP_1)
	v_rcp_iflag_f32_e32 v1, s2
	v_readfirstlane_b32 s2, v1
	v_lshlrev_b32_e32 v1, 3, v0
	s_mul_f32 s6, s2, 0x4f7ffffe
	s_clause 0x9
	s_load_b32 s21, s[0:1], 0x78
	s_load_b32 s20, s[0:1], 0x80
	;; [unrolled: 1-line block ×8, first 2 shown]
	s_load_b128 s[24:27], s[0:1], 0x220
	s_load_b128 s[16:19], s[0:1], 0x234
	v_and_b32_e32 v23, 8, v1
	s_cvt_u32_f32 s6, s6
	s_delay_alu instid0(SALU_CYCLE_3) | instskip(NEXT) | instid1(VALU_DEP_1)
	s_mul_i32 s7, s7, s6
	v_mul_lo_u32 v20, s49, v23
	s_mul_hi_u32 s7, s6, s7
	s_delay_alu instid0(SALU_CYCLE_1) | instskip(NEXT) | instid1(SALU_CYCLE_1)
	s_add_co_i32 s6, s6, s7
	s_mul_hi_u32 s6, s8, s6
	s_delay_alu instid0(SALU_CYCLE_1) | instskip(NEXT) | instid1(SALU_CYCLE_1)
	s_mul_i32 s7, s6, s5
	s_sub_co_i32 s4, s8, s7
	s_add_co_i32 s7, s6, 1
	s_wait_alu 0xfffe
	s_sub_co_i32 s8, s4, s5
	s_cmp_ge_u32 s4, s5
	s_wait_kmcnt 0x0
	v_mul_lo_u32 v24, s31, v23
	s_cselect_b32 s6, s7, s6
	s_cselect_b32 s4, s8, s4
	s_add_co_i32 s7, s6, 1
	s_wait_alu 0xfffe
	s_cmp_ge_u32 s4, s5
	s_mul_hi_u32 s4, s19, ttmp9
	s_cselect_b32 s45, s7, s6
	s_wait_alu 0xfffe
	s_add_co_i32 s4, ttmp9, s4
	v_lshl_add_u32 v25, s31, 2, v24
	s_wait_alu 0xfffe
	s_lshr_b32 s46, s4, s15
	s_load_b32 s15, s[0:1], 0x204
	s_mul_hi_u32 s4, s46, s18
	v_mul_hi_u32 v1, v24, s22
	s_wait_alu 0xfffe
	s_add_co_i32 s18, s46, s4
	v_mul_hi_u32 v2, v25, s22
	s_lshr_b32 s47, s18, s14
	s_load_b256 s[4:11], s[0:1], 0x0
	s_mul_hi_u32 s14, s47, s17
	s_mov_b32 s31, s23
	s_add_co_i32 s14, s47, s14
	v_add_nc_u32_e32 v1, v24, v1
	s_lshr_b32 s48, s14, s13
	v_add_nc_u32_e32 v2, v25, v2
	s_wait_alu 0xfffe
	s_mul_hi_u32 s13, s48, s16
	v_cmp_gt_i32_e32 vcc_lo, s2, v24
	s_add_co_i32 s13, s48, s13
	v_lshrrev_b32_e32 v1, s30, v1
	s_lshr_b32 s12, s13, s12
	s_mul_i32 s13, s47, s26
	s_mul_i32 s12, s12, s24
	s_sub_co_i32 s13, s46, s13
	s_sub_co_i32 s12, s48, s12
	s_clause 0x2
	s_load_b32 s51, s[0:1], 0x48
	s_load_b32 s24, s[0:1], 0x70
	s_load_b96 s[40:42], s[0:1], 0x44
	s_wait_kmcnt 0x0
	s_mul_i32 s12, s12, s15
	v_lshrrev_b32_e32 v4, s30, v2
	s_add_co_i32 s13, s13, s12
	v_mul_lo_u32 v3, v1, s3
	s_lshl_b32 s39, s13, 7
	s_mul_i32 s48, s48, s25
	v_or_b32_e32 v27, s39, v26
	v_sub_nc_u32_e32 v6, v4, v1
	v_mul_lo_u32 v1, v1, s28
	s_mul_i32 s46, s46, s27
	s_delay_alu instid0(VALU_DEP_3)
	v_mul_hi_u32 v2, v27, s21
	s_clause 0x7
	s_load_b32 s22, s[0:1], 0xe8
	s_load_b32 s21, s[0:1], 0xf8
	;; [unrolled: 1-line block ×5, first 2 shown]
	s_load_b64 s[34:35], s[0:1], 0x158
	s_load_b32 s33, s[0:1], 0x164
	s_load_b256 s[12:19], s[0:1], 0x260
	v_mul_lo_u32 v28, v6, s28
	v_add_nc_u32_e32 v5, v27, v2
	v_sub_nc_u32_e32 v2, v24, v3
	s_delay_alu instid0(VALU_DEP_3) | instskip(NEXT) | instid1(VALU_DEP_3)
	v_mul_lo_u32 v13, v28, s37
	v_lshrrev_b32_e32 v10, s20, v5
	s_delay_alu instid0(VALU_DEP_3)
	v_mad_co_u64_u32 v[3:4], null, v4, s3, v[2:3]
	s_sub_co_i32 s20, s47, s48
	s_xor_b32 s3, s45, s44
	v_mul_lo_u32 v5, v10, s24
	s_sub_co_i32 s24, ttmp9, s46
	s_wait_alu 0xfffe
	s_mul_i32 s20, s20, s50
	v_mul_lo_u32 v12, v10, s36
	s_wait_alu 0xfffe
	s_add_co_i32 s24, s24, s20
	s_wait_alu 0xfffe
	s_lshl_b32 s27, s24, 7
	s_sub_co_i32 s24, s3, s44
	v_sub_nc_u32_e32 v4, v27, v5
	v_or_b32_e32 v29, s27, v26
	s_wait_alu 0xfffe
	s_ashr_i32 s25, s24, 31
	s_lshl_b32 s3, s49, 2
	s_wait_kmcnt 0x0
	s_wait_alu 0xfffe
	s_mul_u64 s[14:15], s[14:15], s[24:25]
	v_mad_co_u64_u32 v[21:22], null, v4, s29, v[1:2]
	v_mul_lo_u32 v1, v2, s38
	v_sub_nc_u32_e32 v2, v25, v3
	s_add_nc_u64 s[28:29], s[6:7], s[14:15]
	s_mul_u64 s[6:7], s[12:13], s[24:25]
	s_wait_alu 0xfffe
	s_and_b32 s29, s29, 0xffff
	v_lshlrev_b32_e32 v26, 2, v26
	v_subrev_nc_u32_e32 v3, s51, v21
	v_mad_co_u64_u32 v[8:9], null, v29, s21, v[20:21]
	v_mul_lo_u32 v2, v2, s38
	s_add_nc_u64 s[20:21], s[4:5], s[6:7]
	s_delay_alu instid0(VALU_DEP_3)
	v_mul_lo_u32 v3, v3, s37
	s_wait_alu 0xfffe
	s_and_b32 s21, s21, 0xffff
	s_mul_u64 s[4:5], s[16:17], s[24:25]
	s_mul_u64 s[6:7], s[18:19], s[24:25]
	buffer_load_b128 v[4:7], v8, s[28:31], null offen
	v_add_nc_u32_e32 v8, s3, v8
	s_add_nc_u64 s[24:25], s[8:9], s[4:5]
	v_cmp_gt_i32_e64 s4, s41, v29
	v_add3_u32 v1, v12, v1, v3
	s_add_nc_u64 s[12:13], s[10:11], s[6:7]
	buffer_load_b128 v[8:11], v8, s[28:31], null offen
	s_sub_co_i32 s29, s40, s42
	v_cmp_le_i32_e64 s5, s51, v21
	v_add3_u32 v2, v2, v13, v1
	v_cmp_gt_i32_e64 s7, s43, v27
	s_and_b32 s25, s25, 0xffff
	s_clause 0x1
	buffer_load_b128 v[12:15], v1, s[20:23], null offen
	buffer_load_b128 v[16:19], v2, s[20:23], null offen
	v_lshrrev_b32_e32 v1, 5, v0
	v_lshlrev_b32_e32 v2, 1, v0
	v_lshlrev_b32_e32 v0, 2, v0
	s_clause 0x5
	s_load_b32 s28, s[0:1], 0x170
	s_load_b32 s26, s[0:1], 0x198
	s_load_b64 s[20:21], s[0:1], 0x1a8
	s_load_b32 s22, s[0:1], 0x1b4
	s_load_b32 s15, s[0:1], 0x1c0
	;; [unrolled: 1-line block ×3, first 2 shown]
	v_cmp_gt_i32_e64 s0, s52, v20
	v_lshlrev_b32_e32 v3, 6, v1
	v_and_b32_e32 v22, 0x1f8, v2
	v_lshlrev_b32_e32 v1, 3, v1
	v_cmp_gt_i32_e64 s1, s2, v25
	s_and_b32 s0, s0, s4
	s_and_b32 s13, s13, 0xffff
	v_sub_nc_u32_e32 v22, v22, v3
	v_and_or_b32 v3, v2, 4, v1
	s_delay_alu instid0(VALU_DEP_2)
	v_and_or_b32 v2, v0, 4, v22
	v_lshl_or_b32 v22, v23, 9, v26
	v_add_nc_u32_e32 v23, s3, v20
	v_add_nc_u32_e32 v20, v21, v28
	v_cmp_gt_i32_e64 s3, s29, v21
	v_lshlrev_b32_e32 v1, 2, v2
	v_lshlrev_b32_e32 v0, 2, v3
	v_cmp_gt_i32_e64 s2, s52, v23
	v_cmp_gt_i32_e64 s6, s29, v20
	s_and_b32 s3, s3, vcc_lo
	v_cmp_le_i32_e32 vcc_lo, s51, v20
	s_wait_alu 0xfffe
	s_and_b32 s3, s3, s5
	v_or_b32_e32 v3, s39, v3
	s_and_b32 s1, s6, s1
	v_add_nc_u32_e32 v2, s27, v2
	s_and_b32 s1, s1, vcc_lo
	s_wait_alu 0xfffe
	s_and_b32 vcc_lo, s7, s3
	s_mov_b32 s27, s23
	s_wait_kmcnt 0x0
	s_lshl_b32 s3, s21, 6
	s_wait_loadcnt 0x3
	v_cndmask_b32_e64 v7, 0, v7, s0
	v_cndmask_b32_e64 v6, 0, v6, s0
	;; [unrolled: 1-line block ×4, first 2 shown]
	s_and_b32 s0, s2, s4
	ds_store_2addr_stride64_b32 v22, v4, v5 offset0:64 offset1:66
	ds_store_2addr_stride64_b32 v22, v6, v7 offset0:68 offset1:70
	s_wait_loadcnt 0x2
	s_wait_alu 0xfffe
	v_cndmask_b32_e64 v9, 0, v9, s0
	v_cndmask_b32_e64 v8, 0, v8, s0
	;; [unrolled: 1-line block ×4, first 2 shown]
	s_wait_loadcnt 0x1
	v_dual_cndmask_b32 v5, 0, v15 :: v_dual_cndmask_b32 v6, 0, v14
	ds_store_2addr_stride64_b32 v22, v8, v9 offset0:72 offset1:74
	v_dual_cndmask_b32 v7, 0, v13 :: v_dual_cndmask_b32 v8, 0, v12
	s_and_b32 vcc_lo, s7, s1
	s_lshl_b32 s0, s35, 6
	s_wait_loadcnt 0x0
	s_wait_alu 0xfffe
	v_cndmask_b32_e32 v10, 0, v17, vcc_lo
	v_dual_cndmask_b32 v12, 0, v16 :: v_dual_cndmask_b32 v9, 0, v19
	v_cndmask_b32_e32 v13, 0, v18, vcc_lo
	ds_store_2addr_stride64_b32 v22, v4, v11 offset0:76 offset1:78
	ds_store_2addr_stride64_b32 v22, v8, v7 offset1:2
	ds_store_2addr_stride64_b32 v22, v6, v5 offset0:4 offset1:6
	ds_store_2addr_stride64_b32 v22, v12, v10 offset0:8 offset1:10
	;; [unrolled: 1-line block ×3, first 2 shown]
	s_wait_dscnt 0x0
	s_barrier_signal -1
	s_barrier_wait -1
	global_inv scope:SCOPE_SE
	ds_load_b128 v[4:7], v1 offset:16384
	ds_load_b128 v[8:11], v1 offset:16640
	ds_load_b128 v[12:15], v0
	ds_load_b128 v[16:19], v0 offset:256
	ds_load_b128 v[20:23], v1 offset:16896
	;; [unrolled: 1-line block ×21, first 2 shown]
	s_wait_dscnt 0x15
	v_dot4_i32_iu8 v100, v12, v4, 0 neg_lo:[1,1,0]
	v_dot4_i32_iu8 v101, v12, v5, 0 neg_lo:[1,1,0]
	v_dot4_i32_iu8 v102, v12, v6, 0 neg_lo:[1,1,0]
	v_dot4_i32_iu8 v103, v12, v7, 0 neg_lo:[1,1,0]
	v_dot4_i32_iu8 v104, v13, v4, 0 neg_lo:[1,1,0]
	v_dot4_i32_iu8 v105, v13, v5, 0 neg_lo:[1,1,0]
	v_dot4_i32_iu8 v106, v13, v6, 0 neg_lo:[1,1,0]
	v_dot4_i32_iu8 v107, v13, v7, 0 neg_lo:[1,1,0]
	v_dot4_i32_iu8 v108, v14, v4, 0 neg_lo:[1,1,0]
	v_dot4_i32_iu8 v109, v14, v5, 0 neg_lo:[1,1,0]
	v_dot4_i32_iu8 v110, v14, v6, 0 neg_lo:[1,1,0]
	v_dot4_i32_iu8 v111, v14, v7, 0 neg_lo:[1,1,0]
	v_dot4_i32_iu8 v112, v15, v4, 0 neg_lo:[1,1,0]
	v_dot4_i32_iu8 v113, v15, v5, 0 neg_lo:[1,1,0]
	v_dot4_i32_iu8 v114, v15, v6, 0 neg_lo:[1,1,0]
	v_dot4_i32_iu8 v115, v15, v7, 0 neg_lo:[1,1,0]
	v_dot4_i32_iu8 v116, v12, v8, 0 neg_lo:[1,1,0]
	v_dot4_i32_iu8 v117, v12, v9, 0 neg_lo:[1,1,0]
	v_dot4_i32_iu8 v118, v12, v10, 0 neg_lo:[1,1,0]
	v_dot4_i32_iu8 v12, v12, v11, 0 neg_lo:[1,1,0]
	v_dot4_i32_iu8 v119, v13, v8, 0 neg_lo:[1,1,0]
	v_dot4_i32_iu8 v120, v13, v9, 0 neg_lo:[1,1,0]
	v_dot4_i32_iu8 v121, v13, v10, 0 neg_lo:[1,1,0]
	v_dot4_i32_iu8 v13, v13, v11, 0 neg_lo:[1,1,0]
	v_dot4_i32_iu8 v122, v14, v8, 0 neg_lo:[1,1,0]
	v_dot4_i32_iu8 v123, v14, v9, 0 neg_lo:[1,1,0]
	v_dot4_i32_iu8 v124, v14, v10, 0 neg_lo:[1,1,0]
	v_dot4_i32_iu8 v14, v14, v11, 0 neg_lo:[1,1,0]
	v_dot4_i32_iu8 v125, v15, v8, 0 neg_lo:[1,1,0]
	v_dot4_i32_iu8 v126, v15, v9, 0 neg_lo:[1,1,0]
	v_dot4_i32_iu8 v127, v15, v10, 0 neg_lo:[1,1,0]
	v_dot4_i32_iu8 v15, v15, v11, 0 neg_lo:[1,1,0]
	s_wait_dscnt 0x14
	v_dot4_i32_iu8 v128, v16, v4, 0 neg_lo:[1,1,0]
	v_dot4_i32_iu8 v129, v16, v5, 0 neg_lo:[1,1,0]
	v_dot4_i32_iu8 v130, v16, v6, 0 neg_lo:[1,1,0]
	v_dot4_i32_iu8 v131, v16, v7, 0 neg_lo:[1,1,0]
	v_dot4_i32_iu8 v132, v17, v4, 0 neg_lo:[1,1,0]
	v_dot4_i32_iu8 v133, v17, v5, 0 neg_lo:[1,1,0]
	v_dot4_i32_iu8 v134, v17, v6, 0 neg_lo:[1,1,0]
	v_dot4_i32_iu8 v135, v17, v7, 0 neg_lo:[1,1,0]
	v_dot4_i32_iu8 v136, v18, v4, 0 neg_lo:[1,1,0]
	v_dot4_i32_iu8 v137, v18, v5, 0 neg_lo:[1,1,0]
	v_dot4_i32_iu8 v138, v18, v6, 0 neg_lo:[1,1,0]
	v_dot4_i32_iu8 v139, v18, v7, 0 neg_lo:[1,1,0]
	v_dot4_i32_iu8 v4, v19, v4, 0 neg_lo:[1,1,0]
	v_dot4_i32_iu8 v6, v19, v6, 0 neg_lo:[1,1,0]
	v_dot4_i32_iu8 v7, v19, v7, 0 neg_lo:[1,1,0]
	v_dot4_i32_iu8 v140, v16, v8, 0 neg_lo:[1,1,0]
	v_dot4_i32_iu8 v141, v16, v9, 0 neg_lo:[1,1,0]
	v_dot4_i32_iu8 v142, v16, v10, 0 neg_lo:[1,1,0]
	v_dot4_i32_iu8 v16, v16, v11, 0 neg_lo:[1,1,0]
	v_dot4_i32_iu8 v143, v17, v8, 0 neg_lo:[1,1,0]
	v_dot4_i32_iu8 v144, v17, v9, 0 neg_lo:[1,1,0]
	v_dot4_i32_iu8 v145, v17, v10, 0 neg_lo:[1,1,0]
	v_dot4_i32_iu8 v17, v17, v11, 0 neg_lo:[1,1,0]
	v_dot4_i32_iu8 v146, v18, v8, 0 neg_lo:[1,1,0]
	v_dot4_i32_iu8 v147, v18, v9, 0 neg_lo:[1,1,0]
	v_dot4_i32_iu8 v148, v18, v10, 0 neg_lo:[1,1,0]
	v_dot4_i32_iu8 v18, v18, v11, 0 neg_lo:[1,1,0]
	v_dot4_i32_iu8 v5, v19, v5, 0 neg_lo:[1,1,0]
	v_dot4_i32_iu8 v8, v19, v8, 0 neg_lo:[1,1,0]
	v_dot4_i32_iu8 v9, v19, v9, 0 neg_lo:[1,1,0]
	v_dot4_i32_iu8 v10, v19, v10, 0 neg_lo:[1,1,0]
	v_dot4_i32_iu8 v11, v19, v11, 0 neg_lo:[1,1,0]
	;; [unrolled: 33-line block ×8, first 2 shown]
	s_wait_dscnt 0x5
	v_dot4_i32_iu8 v19, v76, v68, v19 neg_lo:[1,1,0]
	v_dot4_i32_iu8 v25, v76, v70, v25 neg_lo:[1,1,0]
	;; [unrolled: 1-line block ×18, first 2 shown]
	s_wait_dscnt 0x4
	v_dot4_i32_iu8 v31, v80, v68, v31 neg_lo:[1,1,0]
	v_dot4_i32_iu8 v58, v80, v70, v63 neg_lo:[1,1,0]
	;; [unrolled: 1-line block ×46, first 2 shown]
	s_wait_dscnt 0x1
	v_dot4_i32_iu8 v76, v92, v84, v19 neg_lo:[1,1,0]
	v_dot4_i32_iu8 v25, v92, v86, v25 neg_lo:[1,1,0]
	;; [unrolled: 1-line block ×16, first 2 shown]
	ds_load_b128 v[4:7], v0 offset:3072
	s_wait_dscnt 0x1
	v_dot4_i32_iu8 v31, v96, v84, v31 neg_lo:[1,1,0]
	v_dot4_i32_iu8 v58, v96, v86, v58 neg_lo:[1,1,0]
	;; [unrolled: 1-line block ×11, first 2 shown]
	ds_load_b128 v[8:11], v1 offset:19456
	ds_load_b128 v[12:15], v1 offset:19712
	v_dot4_i32_iu8 v71, v99, v87, v71 neg_lo:[1,1,0]
	v_dot4_i32_iu8 v84, v96, v91, v16 neg_lo:[1,1,0]
	;; [unrolled: 1-line block ×4, first 2 shown]
	ds_load_b128 v[16:19], v0 offset:3328
	v_dot4_i32_iu8 v24, v92, v85, v24 neg_lo:[1,1,0]
	v_dot4_i32_iu8 v34, v93, v85, v34 neg_lo:[1,1,0]
	;; [unrolled: 1-line block ×33, first 2 shown]
	s_wait_dscnt 0x2
	v_dot4_i32_iu8 v76, v4, v8, v76 neg_lo:[1,1,0]
	v_dot4_i32_iu8 v24, v4, v9, v24 neg_lo:[1,1,0]
	;; [unrolled: 1-line block ×16, first 2 shown]
	s_wait_dscnt 0x1
	v_dot4_i32_iu8 v52, v4, v12, v52 neg_lo:[1,1,0]
	v_dot4_i32_iu8 v53, v4, v13, v53 neg_lo:[1,1,0]
	v_dot4_i32_iu8 v54, v4, v14, v54 neg_lo:[1,1,0]
	v_dot4_i32_iu8 v77, v4, v15, v77 neg_lo:[1,1,0]
	v_dot4_i32_iu8 v28, v5, v12, v28 neg_lo:[1,1,0]
	v_dot4_i32_iu8 v44, v5, v13, v44 neg_lo:[1,1,0]
	v_dot4_i32_iu8 v55, v5, v14, v55 neg_lo:[1,1,0]
	v_dot4_i32_iu8 v78, v5, v15, v78 neg_lo:[1,1,0]
	v_dot4_i32_iu8 v29, v6, v12, v29 neg_lo:[1,1,0]
	v_dot4_i32_iu8 v45, v6, v13, v45 neg_lo:[1,1,0]
	v_dot4_i32_iu8 v56, v6, v14, v56 neg_lo:[1,1,0]
	v_dot4_i32_iu8 v79, v6, v15, v79 neg_lo:[1,1,0]
	v_dot4_i32_iu8 v30, v7, v12, v30 neg_lo:[1,1,0]
	v_dot4_i32_iu8 v46, v7, v13, v46 neg_lo:[1,1,0]
	v_dot4_i32_iu8 v57, v7, v14, v57 neg_lo:[1,1,0]
	v_dot4_i32_iu8 v80, v7, v15, v80 neg_lo:[1,1,0]
	ds_load_b128 v[4:7], v0 offset:3584
	s_wait_dscnt 0x1
	v_dot4_i32_iu8 v31, v16, v8, v31 neg_lo:[1,1,0]
	v_dot4_i32_iu8 v47, v16, v9, v47 neg_lo:[1,1,0]
	;; [unrolled: 1-line block ×15, first 2 shown]
	ds_load_b128 v[20:23], v1 offset:19968
	v_dot4_i32_iu8 v71, v19, v11, v71 neg_lo:[1,1,0]
	v_dot4_i32_iu8 v81, v16, v12, v81 neg_lo:[1,1,0]
	;; [unrolled: 1-line block ×15, first 2 shown]
	ds_load_b128 v[8:11], v1 offset:20224
	v_dot4_i32_iu8 v74, v19, v14, v74 neg_lo:[1,1,0]
	v_dot4_i32_iu8 v75, v19, v15, v75 neg_lo:[1,1,0]
	ds_load_b128 v[12:15], v0 offset:3840
	s_wait_dscnt 0x2
	v_dot4_i32_iu8 v76, v4, v20, v76 neg_lo:[1,1,0]
	v_dot4_i32_iu8 v24, v4, v21, v24 neg_lo:[1,1,0]
	;; [unrolled: 1-line block ×16, first 2 shown]
	s_wait_dscnt 0x1
	v_dot4_i32_iu8 v52, v4, v8, v52 neg_lo:[1,1,0]
	v_dot4_i32_iu8 v53, v4, v9, v53 neg_lo:[1,1,0]
	;; [unrolled: 1-line block ×16, first 2 shown]
	ds_load_b128 v[4:7], v0 offset:4096
	s_wait_dscnt 0x1
	v_dot4_i32_iu8 v31, v12, v20, v31 neg_lo:[1,1,0]
	v_dot4_i32_iu8 v47, v12, v21, v47 neg_lo:[1,1,0]
	;; [unrolled: 1-line block ×15, first 2 shown]
	ds_load_b128 v[16:19], v1 offset:20480
	v_dot4_i32_iu8 v71, v15, v23, v71 neg_lo:[1,1,0]
	v_dot4_i32_iu8 v81, v12, v8, v81 neg_lo:[1,1,0]
	;; [unrolled: 1-line block ×15, first 2 shown]
	ds_load_b128 v[20:23], v1 offset:20736
	v_dot4_i32_iu8 v74, v15, v10, v74 neg_lo:[1,1,0]
	v_dot4_i32_iu8 v75, v15, v11, v75 neg_lo:[1,1,0]
	ds_load_b128 v[8:11], v0 offset:4352
	s_wait_dscnt 0x2
	v_dot4_i32_iu8 v76, v4, v16, v76 neg_lo:[1,1,0]
	v_dot4_i32_iu8 v24, v4, v17, v24 neg_lo:[1,1,0]
	;; [unrolled: 1-line block ×16, first 2 shown]
	s_wait_dscnt 0x1
	v_dot4_i32_iu8 v52, v4, v20, v52 neg_lo:[1,1,0]
	v_dot4_i32_iu8 v53, v4, v21, v53 neg_lo:[1,1,0]
	;; [unrolled: 1-line block ×16, first 2 shown]
	ds_load_b128 v[4:7], v0 offset:4608
	s_wait_dscnt 0x1
	v_dot4_i32_iu8 v31, v8, v16, v31 neg_lo:[1,1,0]
	v_dot4_i32_iu8 v47, v8, v17, v47 neg_lo:[1,1,0]
	;; [unrolled: 1-line block ×15, first 2 shown]
	ds_load_b128 v[12:15], v1 offset:20992
	v_dot4_i32_iu8 v71, v11, v19, v71 neg_lo:[1,1,0]
	v_dot4_i32_iu8 v81, v8, v20, v81 neg_lo:[1,1,0]
	;; [unrolled: 1-line block ×15, first 2 shown]
	ds_load_b128 v[16:19], v1 offset:21248
	v_dot4_i32_iu8 v74, v11, v22, v74 neg_lo:[1,1,0]
	v_dot4_i32_iu8 v75, v11, v23, v75 neg_lo:[1,1,0]
	ds_load_b128 v[8:11], v0 offset:4864
	s_wait_dscnt 0x2
	v_dot4_i32_iu8 v76, v4, v12, v76 neg_lo:[1,1,0]
	v_dot4_i32_iu8 v24, v4, v13, v24 neg_lo:[1,1,0]
	;; [unrolled: 1-line block ×16, first 2 shown]
	s_wait_dscnt 0x1
	v_dot4_i32_iu8 v52, v4, v16, v52 neg_lo:[1,1,0]
	v_dot4_i32_iu8 v53, v4, v17, v53 neg_lo:[1,1,0]
	;; [unrolled: 1-line block ×16, first 2 shown]
	ds_load_b128 v[4:7], v0 offset:5120
	s_wait_dscnt 0x1
	v_dot4_i32_iu8 v31, v8, v12, v31 neg_lo:[1,1,0]
	v_dot4_i32_iu8 v47, v8, v13, v47 neg_lo:[1,1,0]
	;; [unrolled: 1-line block ×15, first 2 shown]
	ds_load_b128 v[20:23], v1 offset:21504
	v_dot4_i32_iu8 v71, v11, v15, v71 neg_lo:[1,1,0]
	v_dot4_i32_iu8 v81, v8, v16, v81 neg_lo:[1,1,0]
	;; [unrolled: 1-line block ×15, first 2 shown]
	ds_load_b128 v[12:15], v1 offset:21760
	v_dot4_i32_iu8 v74, v11, v18, v74 neg_lo:[1,1,0]
	v_dot4_i32_iu8 v75, v11, v19, v75 neg_lo:[1,1,0]
	ds_load_b128 v[8:11], v0 offset:5376
	ds_load_b128 v[16:19], v1 offset:22016
	s_add_co_i32 s1, s0, s34
	s_lshl_b32 s2, s35, 7
	v_cmp_gt_i32_e32 vcc_lo, s28, v2
	s_wait_alu 0xfffe
	s_sub_co_i32 s1, s1, s2
	s_mul_i32 s2, s34, 60
	s_wait_dscnt 0x2
	v_dot4_i32_iu8 v52, v4, v12, v52 neg_lo:[1,1,0]
	v_dot4_i32_iu8 v53, v4, v13, v53 neg_lo:[1,1,0]
	;; [unrolled: 1-line block ×16, first 2 shown]
	s_wait_dscnt 0x1
	v_dot4_i32_iu8 v81, v8, v12, v81 neg_lo:[1,1,0]
	v_dot4_i32_iu8 v82, v8, v13, v82 neg_lo:[1,1,0]
	v_dot4_i32_iu8 v83, v8, v14, v83 neg_lo:[1,1,0]
	v_dot4_i32_iu8 v84, v8, v15, v84 neg_lo:[1,1,0]
	v_dot4_i32_iu8 v85, v9, v12, v85 neg_lo:[1,1,0]
	v_dot4_i32_iu8 v32, v9, v13, v32 neg_lo:[1,1,0]
	v_dot4_i32_iu8 v36, v9, v14, v36 neg_lo:[1,1,0]
	v_dot4_i32_iu8 v86, v9, v15, v86 neg_lo:[1,1,0]
	v_dot4_i32_iu8 v33, v10, v12, v33 neg_lo:[1,1,0]
	v_dot4_i32_iu8 v37, v10, v13, v37 neg_lo:[1,1,0]
	v_dot4_i32_iu8 v38, v10, v14, v38 neg_lo:[1,1,0]
	v_dot4_i32_iu8 v87, v10, v15, v87 neg_lo:[1,1,0]
	v_dot4_i32_iu8 v72, v11, v12, v72 neg_lo:[1,1,0]
	v_dot4_i32_iu8 v73, v11, v13, v73 neg_lo:[1,1,0]
	v_dot4_i32_iu8 v74, v11, v14, v74 neg_lo:[1,1,0]
	v_dot4_i32_iu8 v75, v11, v15, v75 neg_lo:[1,1,0]
	ds_load_b128 v[12:15], v0 offset:6144
	v_dot4_i32_iu8 v76, v4, v20, v76 neg_lo:[1,1,0]
	v_dot4_i32_iu8 v24, v4, v21, v24 neg_lo:[1,1,0]
	v_dot4_i32_iu8 v25, v4, v22, v25 neg_lo:[1,1,0]
	v_dot4_i32_iu8 v26, v4, v23, v26 neg_lo:[1,1,0]
	v_dot4_i32_iu8 v27, v5, v20, v27 neg_lo:[1,1,0]
	v_dot4_i32_iu8 v34, v5, v21, v34 neg_lo:[1,1,0]
	v_dot4_i32_iu8 v35, v5, v22, v35 neg_lo:[1,1,0]
	v_dot4_i32_iu8 v39, v5, v23, v39 neg_lo:[1,1,0]
	v_dot4_i32_iu8 v40, v6, v20, v40 neg_lo:[1,1,0]
	v_dot4_i32_iu8 v41, v6, v21, v41 neg_lo:[1,1,0]
	v_dot4_i32_iu8 v42, v6, v22, v42 neg_lo:[1,1,0]
	v_dot4_i32_iu8 v43, v6, v23, v43 neg_lo:[1,1,0]
	v_dot4_i32_iu8 v48, v7, v20, v48 neg_lo:[1,1,0]
	v_dot4_i32_iu8 v49, v7, v21, v49 neg_lo:[1,1,0]
	v_dot4_i32_iu8 v50, v7, v22, v50 neg_lo:[1,1,0]
	v_dot4_i32_iu8 v51, v7, v23, v51 neg_lo:[1,1,0]
	ds_load_b128 v[4:7], v0 offset:5632
	v_dot4_i32_iu8 v31, v8, v20, v31 neg_lo:[1,1,0]
	v_dot4_i32_iu8 v47, v8, v21, v47 neg_lo:[1,1,0]
	v_dot4_i32_iu8 v58, v8, v22, v58 neg_lo:[1,1,0]
	v_dot4_i32_iu8 v59, v8, v23, v59 neg_lo:[1,1,0]
	v_dot4_i32_iu8 v60, v9, v20, v60 neg_lo:[1,1,0]
	v_dot4_i32_iu8 v61, v9, v21, v61 neg_lo:[1,1,0]
	v_dot4_i32_iu8 v62, v9, v22, v62 neg_lo:[1,1,0]
	v_dot4_i32_iu8 v63, v9, v23, v63 neg_lo:[1,1,0]
	v_dot4_i32_iu8 v64, v10, v20, v64 neg_lo:[1,1,0]
	v_dot4_i32_iu8 v65, v10, v21, v65 neg_lo:[1,1,0]
	v_dot4_i32_iu8 v66, v10, v22, v66 neg_lo:[1,1,0]
	v_dot4_i32_iu8 v67, v10, v23, v67 neg_lo:[1,1,0]
	v_dot4_i32_iu8 v68, v11, v20, v68 neg_lo:[1,1,0]
	v_dot4_i32_iu8 v69, v11, v21, v69 neg_lo:[1,1,0]
	v_dot4_i32_iu8 v70, v11, v22, v70 neg_lo:[1,1,0]
	v_dot4_i32_iu8 v71, v11, v23, v71 neg_lo:[1,1,0]
	ds_load_b128 v[20:23], v1 offset:22272
	ds_load_b128 v[8:11], v0 offset:5888
	s_wait_dscnt 0x2
	v_dot4_i32_iu8 v76, v4, v16, v76 neg_lo:[1,1,0]
	v_dot4_i32_iu8 v88, v4, v17, v24 neg_lo:[1,1,0]
	;; [unrolled: 1-line block ×16, first 2 shown]
	s_wait_dscnt 0x0
	v_dot4_i32_iu8 v31, v8, v16, v31 neg_lo:[1,1,0]
	v_dot4_i32_iu8 v47, v8, v17, v47 neg_lo:[1,1,0]
	;; [unrolled: 1-line block ×16, first 2 shown]
	ds_load_b128 v[16:19], v1 offset:22528
	v_dot4_i32_iu8 v52, v4, v20, v52 neg_lo:[1,1,0]
	v_dot4_i32_iu8 v53, v4, v21, v53 neg_lo:[1,1,0]
	;; [unrolled: 1-line block ×4, first 2 shown]
	v_mul_lo_u32 v4, v3, s34
	v_dot4_i32_iu8 v28, v5, v20, v28 neg_lo:[1,1,0]
	v_dot4_i32_iu8 v44, v5, v21, v44 neg_lo:[1,1,0]
	;; [unrolled: 1-line block ×8, first 2 shown]
	v_mad_co_u64_u32 v[5:6], null, v2, s35, v[4:5]
	v_dot4_i32_iu8 v30, v7, v20, v30 neg_lo:[1,1,0]
	v_dot4_i32_iu8 v46, v7, v21, v46 neg_lo:[1,1,0]
	;; [unrolled: 1-line block ×6, first 2 shown]
	buffer_load_b32 v4, v5, s[24:27], null offen
	v_add_nc_u32_e32 v6, s0, v5
	v_dot4_i32_iu8 v83, v8, v22, v83 neg_lo:[1,1,0]
	v_dot4_i32_iu8 v84, v8, v23, v84 neg_lo:[1,1,0]
	;; [unrolled: 1-line block ×4, first 2 shown]
	buffer_load_b32 v5, v6, s[24:27], null offen
	v_dot4_i32_iu8 v36, v9, v22, v36 neg_lo:[1,1,0]
	v_dot4_i32_iu8 v9, v9, v23, v86 neg_lo:[1,1,0]
	;; [unrolled: 1-line block ×10, first 2 shown]
	ds_load_b128 v[20:23], v1 offset:22784
	ds_load_b128 v[24:27], v0 offset:6400
	v_add_nc_u32_e32 v7, s1, v6
	s_wait_dscnt 0x2
	v_dot4_i32_iu8 v87, v12, v17, v88 neg_lo:[1,1,0]
	v_dot4_i32_iu8 v88, v12, v18, v89 neg_lo:[1,1,0]
	;; [unrolled: 1-line block ×4, first 2 shown]
	buffer_load_b32 v6, v7, s[24:27], null offen
	v_add_nc_u32_e32 v8, s0, v7
	v_dot4_i32_iu8 v76, v12, v16, v76 neg_lo:[1,1,0]
	v_dot4_i32_iu8 v34, v13, v17, v34 neg_lo:[1,1,0]
	;; [unrolled: 1-line block ×4, first 2 shown]
	v_add_nc_u32_e32 v91, s1, v8
	v_dot4_i32_iu8 v40, v14, v16, v40 neg_lo:[1,1,0]
	v_dot4_i32_iu8 v41, v14, v17, v41 neg_lo:[1,1,0]
	;; [unrolled: 1-line block ×8, first 2 shown]
	s_wait_dscnt 0x1
	v_dot4_i32_iu8 v52, v12, v20, v52 neg_lo:[1,1,0]
	v_dot4_i32_iu8 v53, v12, v21, v53 neg_lo:[1,1,0]
	;; [unrolled: 1-line block ×16, first 2 shown]
	ds_load_b128 v[10:13], v0 offset:6656
	s_wait_dscnt 0x1
	v_dot4_i32_iu8 v31, v24, v16, v31 neg_lo:[1,1,0]
	v_dot4_i32_iu8 v47, v24, v17, v47 neg_lo:[1,1,0]
	;; [unrolled: 1-line block ×10, first 2 shown]
	ds_load_b128 v[14:17], v1 offset:23040
	v_dot4_i32_iu8 v33, v26, v20, v33 neg_lo:[1,1,0]
	v_dot4_i32_iu8 v37, v26, v21, v37 neg_lo:[1,1,0]
	;; [unrolled: 1-line block ×4, first 2 shown]
	v_add_nc_u32_e32 v86, s0, v91
	v_dot4_i32_iu8 v92, v25, v23, v9 neg_lo:[1,1,0]
	v_dot4_i32_iu8 v58, v24, v18, v58 neg_lo:[1,1,0]
	;; [unrolled: 1-line block ×4, first 2 shown]
	s_clause 0x1
	buffer_load_b32 v9, v86, s[24:27], null offen
	buffer_load_b32 v7, v8, s[24:27], null offen
	v_add_nc_u32_e32 v86, s1, v86
	v_dot4_i32_iu8 v63, v25, v19, v63 neg_lo:[1,1,0]
	v_dot4_i32_iu8 v70, v27, v18, v70 neg_lo:[1,1,0]
	;; [unrolled: 1-line block ×14, first 2 shown]
	ds_load_b128 v[18:21], v1 offset:23296
	ds_load_b128 v[22:25], v0 offset:6912
	s_wait_dscnt 0x2
	v_dot4_i32_iu8 v75, v10, v14, v76 neg_lo:[1,1,0]
	v_dot4_i32_iu8 v76, v10, v15, v87 neg_lo:[1,1,0]
	;; [unrolled: 1-line block ×5, first 2 shown]
	s_clause 0x1
	buffer_load_b32 v90, v86, s[24:27], null offen
	buffer_load_b32 v8, v91, s[24:27], null offen
	v_add_nc_u32_e32 v86, s0, v86
	v_dot4_i32_iu8 v34, v11, v15, v34 neg_lo:[1,1,0]
	v_dot4_i32_iu8 v35, v11, v16, v35 neg_lo:[1,1,0]
	;; [unrolled: 1-line block ×4, first 2 shown]
	buffer_load_b32 v91, v86, s[24:27], null offen
	v_add3_u32 v86, s1, s2, v86
	v_dot4_i32_iu8 v41, v12, v15, v41 neg_lo:[1,1,0]
	v_dot4_i32_iu8 v42, v12, v16, v42 neg_lo:[1,1,0]
	;; [unrolled: 1-line block ×4, first 2 shown]
	buffer_load_b32 v93, v86, s[24:27], null offen
	v_add_nc_u32_e32 v86, s0, v86
	v_dot4_i32_iu8 v49, v13, v15, v49 neg_lo:[1,1,0]
	v_dot4_i32_iu8 v50, v13, v16, v50 neg_lo:[1,1,0]
	;; [unrolled: 1-line block ×3, first 2 shown]
	s_wait_dscnt 0x1
	v_dot4_i32_iu8 v52, v10, v18, v52 neg_lo:[1,1,0]
	v_dot4_i32_iu8 v53, v10, v19, v53 neg_lo:[1,1,0]
	;; [unrolled: 1-line block ×16, first 2 shown]
	ds_load_b128 v[10:13], v0 offset:7168
	s_wait_dscnt 0x1
	v_dot4_i32_iu8 v31, v22, v14, v31 neg_lo:[1,1,0]
	v_dot4_i32_iu8 v47, v22, v15, v47 neg_lo:[1,1,0]
	;; [unrolled: 1-line block ×16, first 2 shown]
	ds_load_b128 v[14:17], v1 offset:23552
	v_dot4_i32_iu8 v81, v22, v18, v81 neg_lo:[1,1,0]
	v_dot4_i32_iu8 v82, v22, v19, v82 neg_lo:[1,1,0]
	;; [unrolled: 1-line block ×16, first 2 shown]
	ds_load_b128 v[18:21], v1 offset:23808
	ds_load_b128 v[22:25], v0 offset:7424
	buffer_load_b32 v94, v86, s[24:27], null offen
	v_add_nc_u32_e32 v86, s1, v86
	s_wait_dscnt 0x2
	v_dot4_i32_iu8 v75, v10, v14, v75 neg_lo:[1,1,0]
	v_dot4_i32_iu8 v76, v10, v15, v76 neg_lo:[1,1,0]
	;; [unrolled: 1-line block ×4, first 2 shown]
	buffer_load_b32 v95, v86, s[24:27], null offen
	v_add_nc_u32_e32 v86, s0, v86
	v_dot4_i32_iu8 v89, v11, v14, v89 neg_lo:[1,1,0]
	v_dot4_i32_iu8 v34, v11, v15, v34 neg_lo:[1,1,0]
	;; [unrolled: 1-line block ×4, first 2 shown]
	buffer_load_b32 v96, v86, s[24:27], null offen
	v_dot4_i32_iu8 v40, v12, v14, v40 neg_lo:[1,1,0]
	v_dot4_i32_iu8 v41, v12, v15, v41 neg_lo:[1,1,0]
	;; [unrolled: 1-line block ×8, first 2 shown]
	s_wait_dscnt 0x1
	v_dot4_i32_iu8 v52, v10, v18, v52 neg_lo:[1,1,0]
	v_dot4_i32_iu8 v53, v10, v19, v53 neg_lo:[1,1,0]
	;; [unrolled: 1-line block ×16, first 2 shown]
	ds_load_b128 v[10:13], v0 offset:7680
	s_wait_dscnt 0x1
	v_dot4_i32_iu8 v31, v22, v14, v31 neg_lo:[1,1,0]
	v_dot4_i32_iu8 v47, v22, v15, v47 neg_lo:[1,1,0]
	;; [unrolled: 1-line block ×16, first 2 shown]
	v_add_nc_u32_e32 v86, s1, v86
	ds_load_b128 v[14:17], v1 offset:24064
	v_dot4_i32_iu8 v81, v22, v18, v81 neg_lo:[1,1,0]
	v_dot4_i32_iu8 v82, v22, v19, v82 neg_lo:[1,1,0]
	;; [unrolled: 1-line block ×3, first 2 shown]
	buffer_load_b32 v97, v86, s[24:27], null offen
	v_dot4_i32_iu8 v84, v22, v21, v84 neg_lo:[1,1,0]
	v_dot4_i32_iu8 v85, v23, v18, v85 neg_lo:[1,1,0]
	;; [unrolled: 1-line block ×13, first 2 shown]
	ds_load_b128 v[18:21], v1 offset:24320
	ds_load_b128 v[22:25], v0 offset:7936
	s_wait_dscnt 0x2
	v_dot4_i32_iu8 v1, v10, v15, v76 neg_lo:[1,1,0]
	v_add_nc_u32_e32 v76, s0, v86
	v_dot4_i32_iu8 v86, v10, v17, v88 neg_lo:[1,1,0]
	v_dot4_i32_iu8 v0, v10, v14, v75 neg_lo:[1,1,0]
	;; [unrolled: 1-line block ×4, first 2 shown]
	buffer_load_b32 v88, v76, s[24:27], null offen
	v_add_nc_u32_e32 v76, s1, v76
	v_cmp_gt_i32_e64 s1, s33, v3
	v_dot4_i32_iu8 v34, v11, v15, v34 neg_lo:[1,1,0]
	v_dot4_i32_iu8 v35, v11, v16, v35 neg_lo:[1,1,0]
	;; [unrolled: 1-line block ×8, first 2 shown]
	s_wait_dscnt 0x1
	v_dot4_i32_iu8 v52, v10, v18, v52 neg_lo:[1,1,0]
	v_dot4_i32_iu8 v53, v10, v19, v53 neg_lo:[1,1,0]
	;; [unrolled: 1-line block ×4, first 2 shown]
	buffer_load_b32 v77, v76, s[24:27], null offen
	v_add_nc_u32_e32 v76, s0, v76
	s_and_b32 s0, s1, vcc_lo
	s_wait_dscnt 0x0
	v_dot4_i32_iu8 v64, v24, v14, v64 neg_lo:[1,1,0]
	v_dot4_i32_iu8 v65, v24, v15, v65 neg_lo:[1,1,0]
	;; [unrolled: 1-line block ×3, first 2 shown]
	buffer_load_b32 v76, v76, s[24:27], null offen
	v_dot4_i32_iu8 v67, v24, v17, v67 neg_lo:[1,1,0]
	v_dot4_i32_iu8 v33, v24, v18, v33 neg_lo:[1,1,0]
	;; [unrolled: 1-line block ×5, first 2 shown]
	v_add_nc_u32_e32 v26, 64, v2
	v_dot4_i32_iu8 v49, v13, v15, v49 neg_lo:[1,1,0]
	v_dot4_i32_iu8 v50, v13, v16, v50 neg_lo:[1,1,0]
	;; [unrolled: 1-line block ×39, first 2 shown]
	s_wait_loadcnt 0xf
	v_cndmask_b32_e64 v4, 0, v4, s0
	v_cmp_gt_i32_e64 s0, s28, v26
	s_delay_alu instid0(VALU_DEP_2)
	v_add_nc_u16 v0, v4, v0
	v_lshrrev_b32_e32 v25, 16, v4
	v_lshrrev_b32_e32 v78, 8, v4
	;; [unrolled: 1-line block ×3, first 2 shown]
	s_and_b32 s1, s1, s0
	v_bfe_i32 v0, v0, 0, 8
	v_add_nc_u16 v25, v25, v75
	s_wait_loadcnt 0xe
	s_wait_alu 0xfffe
	v_cndmask_b32_e64 v5, 0, v5, s1
	v_add_nc_u16 v1, v78, v1
	v_or_b32_e32 v78, 0x43, v3
	v_max_i16 v0, v0, 0
	s_delay_alu instid0(VALU_DEP_4) | instskip(NEXT) | instid1(VALU_DEP_4)
	v_lshrrev_b32_e32 v72, 8, v5
	v_bfe_i32 v1, v1, 0, 8
	s_delay_alu instid0(VALU_DEP_3)
	v_and_b32_e32 v27, 0xffff, v0
	v_add_nc_u16 v0, v4, v86
	v_bfe_i32 v4, v25, 0, 8
	v_add_nc_u16 v25, v5, v52
	v_or_b32_e32 v52, 1, v3
	v_max_i16 v1, v1, 0
	v_bfe_i32 v0, v0, 0, 8
	v_max_i16 v4, v4, 0
	v_bfe_i32 v25, v25, 0, 8
	v_cmp_gt_i32_e64 s1, s33, v52
	v_and_b32_e32 v1, 0xffff, v1
	v_max_i16 v73, v0, 0
	v_add_nc_u16 v0, v72, v53
	v_lshrrev_b32_e32 v53, 16, v5
	s_and_b32 s2, s1, vcc_lo
	v_lshrrev_b32_e32 v5, 24, v5
	s_wait_loadcnt 0xd
	s_wait_alu 0xfffe
	v_cndmask_b32_e64 v6, 0, v6, s2
	v_bfe_i32 v0, v0, 0, 8
	v_add_nc_u16 v53, v53, v54
	s_and_b32 s1, s1, s0
	v_add_nc_u16 v5, v5, v10
	v_lshrrev_b32_e32 v54, 8, v6
	v_max_i16 v0, v0, 0
	v_bfe_i32 v10, v53, 0, 8
	v_add_nc_u16 v53, v6, v87
	v_lshlrev_b32_e32 v4, 16, v4
	v_add_nc_u16 v34, v54, v34
	v_and_b32_e32 v54, 0xffff, v0
	v_bfe_i32 v0, v5, 0, 8
	v_max_i16 v5, v10, 0
	v_bfe_i32 v10, v53, 0, 8
	v_bfe_i32 v34, v34, 0, 8
	v_lshrrev_b32_e32 v53, 16, v6
	v_max_i16 v72, v0, 0
	v_lshrrev_b32_e32 v0, 24, v6
	v_max_i16 v6, v10, 0
	v_max_i16 v10, v34, 0
	v_add_nc_u16 v34, v53, v35
	v_or_b32_e32 v35, 2, v3
	v_add_nc_u16 v0, v0, v39
	v_max_i16 v25, v25, 0
	v_lshlrev_b32_e32 v5, 16, v5
	v_bfe_i32 v34, v34, 0, 8
	v_and_b32_e32 v6, 0xffff, v6
	v_bfe_i32 v0, v0, 0, 8
	v_and_b32_e32 v25, 0xffff, v25
	v_and_b32_e32 v10, 0xffff, v10
	v_max_i16 v34, v34, 0
	s_delay_alu instid0(VALU_DEP_4) | instskip(NEXT) | instid1(VALU_DEP_3)
	v_max_i16 v53, v0, 0
	v_lshl_or_b32 v6, v10, 8, v6
	s_delay_alu instid0(VALU_DEP_2) | instskip(SKIP_4) | instid1(VALU_DEP_2)
	v_lshlrev_b32_e32 v10, 24, v53
	s_wait_loadcnt 0xb
	s_wait_alu 0xfffe
	v_cndmask_b32_e64 v7, 0, v7, s1
	v_cmp_gt_i32_e64 s1, s33, v35
	v_lshrrev_b32_e32 v39, 8, v7
	s_and_b32 s2, s1, vcc_lo
	v_add_nc_u16 v28, v7, v28
	s_and_b32 s1, s1, s0
	s_delay_alu instid0(VALU_DEP_2)
	v_add_nc_u16 v0, v39, v44
	v_lshrrev_b32_e32 v39, 16, v7
	v_lshrrev_b32_e32 v7, 24, v7
	s_wait_alu 0xfffe
	v_cndmask_b32_e64 v9, 0, v9, s1
	v_bfe_i32 v28, v28, 0, 8
	v_bfe_i32 v0, v0, 0, 8
	v_add_nc_u16 v39, v39, v55
	v_add_nc_u16 v7, v7, v11
	;; [unrolled: 1-line block ×3, first 2 shown]
	v_max_i16 v28, v28, 0
	v_max_i16 v0, v0, 0
	v_bfe_i32 v11, v39, 0, 8
	s_delay_alu instid0(VALU_DEP_4) | instskip(SKIP_3) | instid1(VALU_DEP_3)
	v_bfe_i32 v29, v29, 0, 8
	s_wait_loadcnt 0x9
	v_cndmask_b32_e64 v8, 0, v8, s2
	v_and_b32_e32 v28, 0xffff, v28
	v_max_i16 v29, v29, 0
	s_delay_alu instid0(VALU_DEP_3) | instskip(SKIP_1) | instid1(VALU_DEP_3)
	v_lshrrev_b32_e32 v44, 8, v8
	v_add_nc_u16 v39, v8, v40
	v_and_b32_e32 v29, 0xffff, v29
	s_delay_alu instid0(VALU_DEP_3)
	v_add_nc_u16 v40, v44, v41
	v_and_b32_e32 v41, 0xffff, v0
	v_bfe_i32 v0, v7, 0, 8
	v_max_i16 v7, v11, 0
	v_bfe_i32 v11, v39, 0, 8
	v_bfe_i32 v39, v40, 0, 8
	v_lshrrev_b32_e32 v40, 16, v8
	v_max_i16 v44, v0, 0
	v_lshrrev_b32_e32 v0, 24, v8
	v_max_i16 v8, v11, 0
	v_max_i16 v11, v39, 0
	v_add_nc_u16 v39, v40, v42
	v_or_b32_e32 v40, 3, v3
	v_add_nc_u16 v0, v0, v43
	v_lshrrev_b32_e32 v42, 8, v9
	v_lshlrev_b32_e32 v7, 16, v7
	v_bfe_i32 v39, v39, 0, 8
	v_cmp_gt_i32_e64 s1, s33, v40
	v_bfe_i32 v0, v0, 0, 8
	v_and_b32_e32 v8, 0xffff, v8
	v_and_b32_e32 v11, 0xffff, v11
	v_max_i16 v39, v39, 0
	s_and_b32 s2, s1, vcc_lo
	v_max_i16 v43, v0, 0
	v_add_nc_u16 v0, v42, v45
	v_lshrrev_b32_e32 v42, 16, v9
	s_wait_alu 0xfffe
	v_cndmask_b32_e64 v45, 0, v90, s2
	v_lshrrev_b32_e32 v9, 24, v9
	s_and_b32 s1, s1, s0
	v_bfe_i32 v0, v0, 0, 8
	v_add_nc_u16 v42, v42, v56
	v_lshrrev_b32_e32 v55, 8, v45
	v_add_nc_u16 v9, v9, v12
	v_lshl_or_b32 v8, v11, 8, v8
	v_max_i16 v0, v0, 0
	v_bfe_i32 v12, v42, 0, 8
	v_add_nc_u16 v42, v45, v48
	v_add_nc_u16 v48, v55, v49
	v_lshlrev_b32_e32 v11, 16, v39
	v_and_b32_e32 v49, 0xffff, v0
	v_bfe_i32 v0, v9, 0, 8
	v_max_i16 v9, v12, 0
	v_bfe_i32 v12, v42, 0, 8
	v_bfe_i32 v42, v48, 0, 8
	v_lshrrev_b32_e32 v48, 16, v45
	v_max_i16 v55, v0, 0
	v_lshrrev_b32_e32 v0, 24, v45
	v_max_i16 v12, v12, 0
	v_max_i16 v42, v42, 0
	v_add_nc_u16 v45, v48, v50
	s_wait_loadcnt 0x8
	s_wait_alu 0xfffe
	v_cndmask_b32_e64 v48, 0, v91, s1
	v_add_nc_u16 v0, v0, v51
	v_or_b32_e32 v50, 64, v3
	v_lshlrev_b32_e32 v9, 16, v9
	v_bfe_i32 v45, v45, 0, 8
	v_lshrrev_b32_e32 v51, 8, v48
	v_bfe_i32 v0, v0, 0, 8
	v_cmp_gt_i32_e64 s1, s33, v50
	v_add_nc_u16 v30, v48, v30
	v_and_b32_e32 v12, 0xffff, v12
	v_and_b32_e32 v42, 0xffff, v42
	v_max_i16 v56, v0, 0
	v_add_nc_u16 v0, v51, v46
	v_lshrrev_b32_e32 v46, 16, v48
	v_lshrrev_b32_e32 v48, 24, v48
	s_and_b32 s2, s1, vcc_lo
	s_and_b32 s1, s1, s0
	v_bfe_i32 v0, v0, 0, 8
	s_wait_loadcnt 0x7
	s_wait_alu 0xfffe
	v_cndmask_b32_e64 v51, 0, v93, s2
	v_add_nc_u16 v13, v48, v13
	v_add_nc_u16 v46, v46, v57
	v_bfe_i32 v30, v30, 0, 8
	v_max_i16 v0, v0, 0
	v_lshrrev_b32_e32 v57, 8, v51
	v_add_nc_u16 v31, v51, v31
	v_bfe_i32 v46, v46, 0, 8
	v_max_i16 v30, v30, 0
	v_and_b32_e32 v48, 0xffff, v0
	v_bfe_i32 v0, v13, 0, 8
	v_add_nc_u16 v47, v57, v47
	v_max_i16 v13, v46, 0
	v_and_b32_e32 v30, 0xffff, v30
	v_max_i16 v45, v45, 0
	v_max_i16 v57, v0, 0
	v_lshrrev_b32_e32 v0, 24, v51
	v_bfe_i32 v46, v47, 0, 8
	v_lshrrev_b32_e32 v47, 16, v51
	s_wait_loadcnt 0x6
	v_cndmask_b32_e64 v51, 0, v94, s1
	v_bfe_i32 v31, v31, 0, 8
	v_add_nc_u16 v0, v0, v59
	v_or_b32_e32 v59, 0x41, v3
	v_add_nc_u16 v47, v47, v58
	v_add_nc_u16 v58, v51, v68
	v_lshrrev_b32_e32 v68, 8, v51
	v_bfe_i32 v0, v0, 0, 8
	v_cmp_gt_i32_e64 s1, s33, v59
	v_max_i16 v31, v31, 0
	v_bfe_i32 v58, v58, 0, 8
	v_max_i16 v46, v46, 0
	v_max_i16 v74, v0, 0
	s_and_b32 s2, s1, vcc_lo
	v_add_nc_u16 v0, v68, v69
	v_lshrrev_b32_e32 v68, 16, v51
	s_wait_loadcnt 0x5
	s_wait_alu 0xfffe
	v_cndmask_b32_e64 v69, 0, v95, s2
	v_lshrrev_b32_e32 v51, 24, v51
	s_and_b32 s1, s1, s0
	v_bfe_i32 v0, v0, 0, 8
	v_add_nc_u16 v68, v68, v70
	v_lshrrev_b32_e32 v70, 8, v69
	v_add_nc_u16 v22, v51, v22
	v_add_nc_u16 v60, v69, v60
	v_max_i16 v0, v0, 0
	v_bfe_i32 v51, v68, 0, 8
	v_add_nc_u16 v61, v70, v61
	v_max_i16 v58, v58, 0
	v_bfe_i32 v47, v47, 0, 8
	v_and_b32_e32 v68, 0xffff, v0
	v_bfe_i32 v0, v22, 0, 8
	v_max_i16 v22, v51, 0
	v_bfe_i32 v51, v60, 0, 8
	v_bfe_i32 v60, v61, 0, 8
	v_lshrrev_b32_e32 v61, 16, v69
	v_max_i16 v70, v0, 0
	v_lshrrev_b32_e32 v0, 24, v69
	v_or_b32_e32 v69, 0x42, v3
	v_max_i16 v51, v51, 0
	v_add_nc_u16 v61, v61, v62
	s_wait_loadcnt 0x4
	s_wait_alu 0xfffe
	v_cndmask_b32_e64 v62, 0, v96, s1
	v_add_nc_u16 v0, v0, v63
	v_cmp_gt_i32_e64 s1, s33, v69
	v_max_i16 v60, v60, 0
	v_bfe_i32 v61, v61, 0, 8
	v_add_nc_u16 v63, v62, v71
	v_bfe_i32 v0, v0, 0, 8
	v_lshrrev_b32_e32 v71, 8, v62
	s_and_b32 s2, s1, vcc_lo
	s_and_b32 s1, s1, s0
	v_bfe_i32 v63, v63, 0, 8
	v_max_i16 v75, v0, 0
	v_add_nc_u16 v0, v71, v32
	v_lshrrev_b32_e32 v32, 16, v62
	s_wait_loadcnt 0x3
	s_wait_alu 0xfffe
	v_cndmask_b32_e64 v71, 0, v97, s2
	v_max_i16 v63, v63, 0
	v_and_b32_e32 v51, 0xffff, v51
	v_bfe_i32 v0, v0, 0, 8
	v_add_nc_u16 v32, v32, v36
	v_lshrrev_b32_e32 v36, 24, v62
	v_and_b32_e32 v62, 0xffff, v63
	v_lshrrev_b32_e32 v63, 8, v71
	v_max_i16 v0, v0, 0
	v_and_b32_e32 v60, 0xffff, v60
	v_add_nc_u16 v23, v36, v23
	v_add_nc_u16 v36, v71, v64
	;; [unrolled: 1-line block ×3, first 2 shown]
	v_and_b32_e32 v64, 0xffff, v0
	v_lshrrev_b32_e32 v65, 24, v71
	v_bfe_i32 v0, v23, 0, 8
	v_bfe_i32 v23, v36, 0, 8
	;; [unrolled: 1-line block ×3, first 2 shown]
	v_lshrrev_b32_e32 v63, 16, v71
	v_max_i16 v61, v61, 0
	v_max_i16 v71, v0, 0
	;; [unrolled: 1-line block ×4, first 2 shown]
	v_add_nc_u16 v36, v63, v66
	v_add_nc_u16 v63, v65, v67
	s_wait_loadcnt 0x2
	v_cndmask_b32_e64 v65, 0, v88, s1
	v_and_b32_e32 v66, 0xffff, v0
	v_cmp_gt_i32_e64 s1, s33, v78
	v_bfe_i32 v0, v36, 0, 8
	v_bfe_i32 v36, v63, 0, 8
	v_add_nc_u16 v33, v65, v33
	v_lshrrev_b32_e32 v63, 8, v65
	s_and_b32 vcc_lo, s1, vcc_lo
	v_max_i16 v67, v0, 0
	v_bfe_i32 v32, v32, 0, 8
	v_bfe_i32 v0, v33, 0, 8
	v_add_nc_u16 v33, v63, v37
	v_lshrrev_b32_e32 v37, 16, v65
	v_lshrrev_b32_e32 v63, 24, v65
	v_and_b32_e32 v23, 0xffff, v23
	v_max_i16 v0, v0, 0
	v_bfe_i32 v33, v33, 0, 8
	v_add_nc_u16 v37, v37, v38
	s_wait_loadcnt 0x1
	s_wait_alu 0xfffe
	v_cndmask_b32_e32 v38, 0, v77, vcc_lo
	v_add_nc_u16 v24, v63, v24
	v_and_b32_e32 v63, 0xffff, v0
	v_max_i16 v0, v33, 0
	v_bfe_i32 v33, v37, 0, 8
	v_lshrrev_b32_e32 v37, 8, v38
	s_and_b32 vcc_lo, s1, s0
	v_add_nc_u16 v14, v38, v14
	v_and_b32_e32 v65, 0xffff, v0
	v_cmp_gt_i32_e64 s0, s22, v3
	v_add_nc_u16 v0, v37, v15
	v_lshrrev_b32_e32 v15, 16, v38
	s_wait_loadcnt 0x0
	s_wait_alu 0xfffe
	v_cndmask_b32_e32 v37, 0, v76, vcc_lo
	v_cmp_gt_i32_e32 vcc_lo, s15, v2
	v_bfe_i32 v14, v14, 0, 8
	v_bfe_i32 v0, v0, 0, 8
	v_add_nc_u16 v15, v15, v16
	v_lshrrev_b32_e32 v16, 24, v38
	v_lshrrev_b32_e32 v38, 8, v37
	v_add_nc_u16 v18, v37, v18
	v_max_i16 v0, v0, 0
	s_and_b32 s1, s0, vcc_lo
	v_max_i16 v14, v14, 0
	v_add_nc_u16 v19, v38, v19
	v_bfe_i32 v15, v15, 0, 8
	v_and_b32_e32 v38, 0xffff, v0
	v_add_nc_u16 v0, v16, v17
	v_bfe_i32 v16, v18, 0, 8
	v_lshrrev_b32_e32 v18, 16, v37
	v_bfe_i32 v17, v19, 0, 8
	v_lshrrev_b32_e32 v19, 24, v37
	v_bfe_i32 v0, v0, 0, 8
	v_max_i16 v16, v16, 0
	v_add_nc_u16 v18, v18, v20
	v_max_i16 v17, v17, 0
	v_add_nc_u16 v19, v19, v21
	v_max_i16 v20, v0, 0
	v_mul_lo_u32 v0, v3, s20
	v_lshl_or_b32 v21, v1, 8, v27
	v_lshlrev_b32_e32 v27, 24, v73
	v_bfe_i32 v18, v18, 0, 8
	v_bfe_i32 v19, v19, 0, 8
	;; [unrolled: 1-line block ×3, first 2 shown]
	v_and_b32_e32 v14, 0xffff, v14
	v_or3_b32 v3, v21, v4, v27
	v_mad_co_u64_u32 v[0:1], null, v2, s21, v[0:1]
	s_wait_alu 0xfffe
	v_cndmask_b32_e64 v4, 0x80000000, 0, s1
	v_cmp_gt_i32_e64 s1, s15, v26
	v_max_i16 v1, v18, 0
	v_max_i16 v2, v19, 0
	v_lshl_or_b32 v19, v54, 8, v25
	v_lshlrev_b32_e32 v21, 24, v72
	s_and_b32 s0, s0, s1
	v_add_nc_u32_e32 v18, s3, v0
	s_wait_alu 0xfffe
	v_cndmask_b32_e64 v25, 0x80000000, 0, s0
	v_cmp_gt_i32_e64 s0, s22, v52
	v_add_nc_u32_e32 v4, v4, v0
	v_or3_b32 v5, v19, v5, v21
	s_mov_b32 s15, s23
	v_add_nc_u32_e32 v19, v25, v18
	s_and_b32 s2, s0, s1
	s_clause 0x1
	buffer_store_b32 v3, v4, s[12:15], null offen
	buffer_store_b32 v5, v19, s[12:15], null offen
	v_cndmask_b32_e64 v5, 0x80000000, 0, s2
	v_cmp_gt_i32_e64 s2, s22, v35
	v_lshl_or_b32 v21, v41, 8, v28
	v_lshlrev_b32_e32 v25, 24, v44
	s_and_b32 s0, s0, vcc_lo
	v_add_nc_u32_e32 v3, s20, v18
	s_wait_alu 0xfffe
	v_cndmask_b32_e64 v18, 0x80000000, 0, s0
	s_and_b32 s0, s2, vcc_lo
	v_or3_b32 v4, v21, v7, v25
	v_add_nc_u32_e32 v0, s20, v0
	v_lshlrev_b32_e32 v7, 16, v34
	v_lshlrev_b32_e32 v19, 24, v43
	s_wait_alu 0xfffe
	v_cndmask_b32_e64 v21, 0x80000000, 0, s0
	v_add_nc_u32_e32 v5, v5, v3
	v_add_nc_u32_e32 v3, s20, v3
	s_and_b32 s0, s2, s1
	v_or3_b32 v6, v6, v7, v10
	v_add_nc_u32_e32 v7, v0, v18
	v_or3_b32 v8, v8, v11, v19
	v_add3_u32 v0, v21, s20, v0
	s_wait_alu 0xfffe
	v_cndmask_b32_e64 v18, 0x80000000, 0, s0
	v_cmp_gt_i32_e64 s0, s22, v40
	v_lshl_or_b32 v10, v49, 8, v29
	v_lshlrev_b32_e32 v11, 24, v55
	s_clause 0x2
	buffer_store_b32 v4, v5, s[12:15], null offen
	buffer_store_b32 v6, v7, s[12:15], null offen
	buffer_store_b32 v8, v0, s[12:15], null offen
	v_add_nc_u32_e32 v5, s20, v3
	s_and_b32 s2, s0, s1
	s_and_b32 s0, s0, vcc_lo
	v_or3_b32 v0, v10, v9, v11
	v_add_nc_u32_e32 v4, v3, v18
	v_lshl_or_b32 v6, v48, 8, v30
	v_lshlrev_b32_e32 v7, 16, v13
	v_lshlrev_b32_e32 v8, 24, v57
	s_wait_alu 0xfffe
	v_cndmask_b32_e64 v9, 0x80000000, 0, s2
	v_subrev_nc_u32_e32 v10, s3, v5
	v_lshl_or_b32 v11, v42, 8, v12
	v_lshlrev_b32_e32 v12, 16, v45
	v_lshlrev_b32_e32 v13, 24, v56
	v_cndmask_b32_e64 v18, 0x80000000, 0, s0
	v_cmp_gt_i32_e64 s0, s22, v78
	buffer_store_b32 v0, v4, s[12:15], null offen
	v_or3_b32 v0, v6, v7, v8
	v_add_nc_u32_e32 v4, v5, v9
	v_or3_b32 v6, v11, v12, v13
	v_add_nc_u32_e32 v7, v10, v18
	s_and_b32 s4, s0, vcc_lo
	s_and_b32 s0, s0, s1
	s_clause 0x1
	buffer_store_b32 v0, v4, s[12:15], null offen
	buffer_store_b32 v6, v7, s[12:15], null offen
	v_cndmask_b32_e64 v7, 0x80000000, 0, s0
	v_cmp_ge_i32_e64 s0, s22, v78
	v_max_i16 v15, v15, 0
	v_and_b32_e32 v16, 0xffff, v16
	v_and_b32_e32 v17, 0xffff, v17
	v_max_i16 v33, v33, 0
	s_and_b32 s0, s0, s1
	v_max_i16 v24, v24, 0
	s_wait_alu 0xfffe
	v_cndmask_b32_e64 v12, 0x80000000, 0, s0
	v_cmp_gt_i32_e64 s0, s22, v69
	v_lshl_or_b32 v8, v38, 8, v14
	v_lshlrev_b32_e32 v9, 16, v15
	v_lshlrev_b32_e32 v11, 24, v20
	v_cndmask_b32_e64 v4, 0x80000000, 0, s4
	s_lshl_b32 s2, s20, 6
	v_lshl_or_b32 v6, v17, 8, v16
	v_lshlrev_b32_e32 v1, 16, v1
	v_lshlrev_b32_e32 v2, 24, v2
	s_and_b32 s0, s0, vcc_lo
	v_or3_b32 v0, v8, v9, v11
	s_wait_alu 0xfffe
	v_add_nc_u32_e32 v3, s2, v3
	v_lshl_or_b32 v8, v65, 8, v63
	v_lshlrev_b32_e32 v9, 16, v33
	v_lshlrev_b32_e32 v11, 24, v24
	v_add3_u32 v4, v4, s2, v10
	v_cndmask_b32_e64 v10, 0x80000000, 0, s0
	v_cmp_ge_i32_e64 s0, s22, v69
	v_or3_b32 v1, v6, v1, v2
	v_add3_u32 v2, v5, s2, v7
	v_or3_b32 v5, v8, v9, v11
	v_add_nc_u32_e32 v6, v3, v12
	v_subrev_nc_u32_e32 v3, s3, v3
	s_and_b32 s0, s0, vcc_lo
	s_clause 0x2
	buffer_store_b32 v0, v4, s[12:15], null offen
	buffer_store_b32 v1, v2, s[12:15], null offen
	;; [unrolled: 1-line block ×3, first 2 shown]
	v_cndmask_b32_e64 v6, 0x80000000, 0, s0
	v_cmp_gt_i32_e64 s0, s22, v59
	v_add_nc_u32_e32 v1, v3, v10
	v_subrev_nc_u32_e32 v2, s20, v3
	v_lshl_or_b32 v3, v60, 8, v51
	v_lshlrev_b32_e32 v4, 16, v61
	v_lshlrev_b32_e32 v5, 24, v75
	v_max_i16 v36, v36, 0
	s_and_b32 s0, s0, s1
	v_max_i16 v32, v32, 0
	v_lshl_or_b32 v7, v23, 8, v66
	v_or3_b32 v3, v3, v4, v5
	v_add_nc_u32_e32 v4, s3, v2
	v_add_nc_u32_e32 v2, v2, v6
	s_wait_alu 0xfffe
	v_cndmask_b32_e64 v6, 0x80000000, 0, s0
	v_cmp_gt_i32_e64 s0, s22, v50
	v_lshlrev_b32_e32 v8, 16, v67
	v_lshlrev_b32_e32 v9, 24, v36
	v_cmp_ge_i32_e64 s2, s22, v59
	v_and_b32_e32 v58, 0xffff, v58
	s_and_b32 s0, s0, vcc_lo
	v_and_b32_e32 v31, 0xffff, v31
	v_or3_b32 v0, v7, v8, v9
	v_lshl_or_b32 v7, v64, 8, v62
	v_lshlrev_b32_e32 v8, 16, v32
	v_lshlrev_b32_e32 v9, 24, v71
	v_and_b32_e32 v46, 0xffff, v46
	v_max_i16 v47, v47, 0
	s_wait_alu 0xfffe
	v_cndmask_b32_e64 v11, 0x80000000, 0, s0
	s_and_b32 s0, s2, s1
	v_or3_b32 v5, v7, v8, v9
	v_subrev_nc_u32_e32 v7, s20, v4
	v_lshl_or_b32 v8, v68, 8, v58
	v_lshlrev_b32_e32 v9, 16, v22
	v_lshlrev_b32_e32 v10, 24, v70
	s_wait_alu 0xfffe
	v_cndmask_b32_e64 v12, 0x80000000, 0, s0
	v_lshl_or_b32 v13, v46, 8, v31
	v_lshlrev_b32_e32 v14, 16, v47
	v_lshlrev_b32_e32 v15, 24, v74
	v_subrev_nc_u32_e32 v11, s3, v11
	v_add_nc_u32_e32 v4, v4, v6
	v_or3_b32 v6, v8, v9, v10
	v_add_nc_u32_e32 v8, v7, v12
	v_or3_b32 v9, v13, v14, v15
	v_add_nc_u32_e32 v7, v11, v7
	s_clause 0x4
	buffer_store_b32 v0, v1, s[12:15], null offen
	buffer_store_b32 v3, v2, s[12:15], null offen
	;; [unrolled: 1-line block ×5, first 2 shown]
	s_nop 0
	s_sendmsg sendmsg(MSG_DEALLOC_VGPRS)
	s_endpgm
	.section	.rodata,"a",@progbits
	.p2align	6, 0x0
	.amdhsa_kernel _ZN2ck16tensor_operation6device12_GLOBAL__N_137kernel_grouped_conv_fwd_dl_multiple_dINS_32GridwiseGemmDlMultipleD_km_kn_mnILi256EaiNS_5TupleIJaEEEaNS0_12element_wise11PassThroughES8_NS7_7AddReluELNS_25InMemoryDataOperationEnumE0ENS_16TensorDescriptorINS5_IJNS_5EmbedINS5_IJiiiEEESD_Lb0EEENS_11PassThroughIiEENS_3PadIiiiLb0EEESG_SG_NSC_INS5_IJiiEEESJ_Lb0EEESG_NS_23Merge_v2_magic_divisionISJ_EESM_NS_8RightPadIiiLb0EEESO_NS_7UnMergeISJ_Lb0EEESG_EEENS5_IJNS_8SequenceIJLi0EEEENSS_IJLi1EEEENSS_IJLi2EEEENSS_IJLi3EEEENSS_IJLi4EEEENSS_IJLi5EEEENSS_IJLi6EEEENSS_IJLi7ELi9EEEENSS_IJLi8ELi10EEEENSS_IJLi11EEEENSS_IJLi12EEEENSS_IJLi14EEEENSS_IJLi13EEEEEEENS5_IJNSS_IJLi1ELi2ELi3EEEESX_SY_SZ_NSS_IJLi7EEEENSS_IJLi8ELi9EEEENSS_IJLi10EEEES12_S13_S15_S14_NSS_IJLi15ELi16EEEENSS_IJLi17EEEEEEENSS_IJLi15ELi17ELi16EEEElEENSB_INS5_IJSQ_SO_SO_SQ_SG_EEENS5_IJST_SU_SV_SX_SW_EEENS5_IJNSS_IJLi1ELi2EEEESW_SX_NSS_IJLi5ELi6EEEES18_EEENSS_IJLi5ELi7ELi6EEEElEENSB_INS5_IJSK_SO_SO_EEENS5_IJST_SU_SV_EEENS5_IJS1I_SW_SX_EEENSS_IJLi3ELi4EEEElEELi128ELi128ELi16ELi4ELi4ELi4ELi1ENSS_IJLi8ELi2EEEES1S_NSS_IJLi8ELi1ELi1ELi4EEEENSS_IJLi2ELi1ELi128ELi1EEEENSS_IJLi1ELi2ELi0ELi3EEEES1V_NSS_IJLi4ELi1ELi1ELi4EEEES1V_NSS_IJLi1ELi1ELi1ELi4EEEES1T_S1U_S1V_S1V_S1W_S1V_S1X_NSS_IJLi0ELi1ELi2ELi3ELi4ELi5EEEELi5ELi4EEEaNS5_IJPKaEEEaS8_S8_S9_NSB_INS5_IJSE_SG_SI_SG_SG_SK_SG_SM_SM_SO_SO_SQ_SG_SG_NSP_INS5_IJiNS_17integral_constantIiLi128EEEEEELb0EEENSF_INS23_IiLi4EEEEEEEENS5_IJST_SU_SV_SW_SX_SY_SZ_S10_S11_S12_S13_S14_S15_NSS_IJLi15EEEES1C_NSS_IJLi16EEEEEEENS5_IJS17_SX_SY_SZ_S18_S19_S1A_S12_S13_S15_S14_S1B_S1C_NSS_IJLi18EEEENSS_IJLi19ELi20EEEENSS_IJLi21EEEEEEENSS_IJLi18ELi19ELi20ELi21EEEElEENSB_INS5_IJSQ_SO_SO_SQ_SG_SG_S26_S28_EEENS5_IJST_SU_SV_SX_SW_SY_S18_SZ_EEENS5_IJS1I_SW_SX_S1J_S18_NSS_IJLi8EEEENSS_IJLi9ELi10EEEES12_EEENSS_IJLi8ELi9ELi10ELi11EEEElEENS5_IJNSB_INS5_IJSK_SO_SO_NSP_INS5_IJiNS23_IiLi2EEENS23_IiLi64EEEEEELb0EEES2T_EEENS5_IJST_SU_SV_SW_SX_EEENS5_IJS1I_SW_SX_NSS_IJLi5ELi6ELi7EEEENSS_IJLi8ELi9ELi10EEEEEEENSS_IJLi5ELi6ELi7ELi8ELi9ELi10EEEElEEEEES30_NS_31BlockToCTileMap_M00_N00_M01_N01ILi128ELi128ES1R_Lb0EEENS1_30ComputePtrOffsetOfStridedBatchILi1ELi1ELi1EvEELb0ELb0EEEvPKT0_S38_T1_PT2_T3_T4_T5_iT6_T7_T8_T9_T10_T11_
		.amdhsa_group_segment_fixed_size 32768
		.amdhsa_private_segment_fixed_size 0
		.amdhsa_kernarg_size 904
		.amdhsa_user_sgpr_count 2
		.amdhsa_user_sgpr_dispatch_ptr 0
		.amdhsa_user_sgpr_queue_ptr 0
		.amdhsa_user_sgpr_kernarg_segment_ptr 1
		.amdhsa_user_sgpr_dispatch_id 0
		.amdhsa_user_sgpr_private_segment_size 0
		.amdhsa_wavefront_size32 1
		.amdhsa_uses_dynamic_stack 0
		.amdhsa_enable_private_segment 0
		.amdhsa_system_sgpr_workgroup_id_x 1
		.amdhsa_system_sgpr_workgroup_id_y 0
		.amdhsa_system_sgpr_workgroup_id_z 0
		.amdhsa_system_sgpr_workgroup_info 0
		.amdhsa_system_vgpr_workitem_id 0
		.amdhsa_next_free_vgpr 169
		.amdhsa_next_free_sgpr 53
		.amdhsa_reserve_vcc 1
		.amdhsa_float_round_mode_32 0
		.amdhsa_float_round_mode_16_64 0
		.amdhsa_float_denorm_mode_32 3
		.amdhsa_float_denorm_mode_16_64 3
		.amdhsa_fp16_overflow 0
		.amdhsa_workgroup_processor_mode 1
		.amdhsa_memory_ordered 1
		.amdhsa_forward_progress 1
		.amdhsa_inst_pref_size 112
		.amdhsa_round_robin_scheduling 0
		.amdhsa_exception_fp_ieee_invalid_op 0
		.amdhsa_exception_fp_denorm_src 0
		.amdhsa_exception_fp_ieee_div_zero 0
		.amdhsa_exception_fp_ieee_overflow 0
		.amdhsa_exception_fp_ieee_underflow 0
		.amdhsa_exception_fp_ieee_inexact 0
		.amdhsa_exception_int_div_zero 0
	.end_amdhsa_kernel
	.section	.text._ZN2ck16tensor_operation6device12_GLOBAL__N_137kernel_grouped_conv_fwd_dl_multiple_dINS_32GridwiseGemmDlMultipleD_km_kn_mnILi256EaiNS_5TupleIJaEEEaNS0_12element_wise11PassThroughES8_NS7_7AddReluELNS_25InMemoryDataOperationEnumE0ENS_16TensorDescriptorINS5_IJNS_5EmbedINS5_IJiiiEEESD_Lb0EEENS_11PassThroughIiEENS_3PadIiiiLb0EEESG_SG_NSC_INS5_IJiiEEESJ_Lb0EEESG_NS_23Merge_v2_magic_divisionISJ_EESM_NS_8RightPadIiiLb0EEESO_NS_7UnMergeISJ_Lb0EEESG_EEENS5_IJNS_8SequenceIJLi0EEEENSS_IJLi1EEEENSS_IJLi2EEEENSS_IJLi3EEEENSS_IJLi4EEEENSS_IJLi5EEEENSS_IJLi6EEEENSS_IJLi7ELi9EEEENSS_IJLi8ELi10EEEENSS_IJLi11EEEENSS_IJLi12EEEENSS_IJLi14EEEENSS_IJLi13EEEEEEENS5_IJNSS_IJLi1ELi2ELi3EEEESX_SY_SZ_NSS_IJLi7EEEENSS_IJLi8ELi9EEEENSS_IJLi10EEEES12_S13_S15_S14_NSS_IJLi15ELi16EEEENSS_IJLi17EEEEEEENSS_IJLi15ELi17ELi16EEEElEENSB_INS5_IJSQ_SO_SO_SQ_SG_EEENS5_IJST_SU_SV_SX_SW_EEENS5_IJNSS_IJLi1ELi2EEEESW_SX_NSS_IJLi5ELi6EEEES18_EEENSS_IJLi5ELi7ELi6EEEElEENSB_INS5_IJSK_SO_SO_EEENS5_IJST_SU_SV_EEENS5_IJS1I_SW_SX_EEENSS_IJLi3ELi4EEEElEELi128ELi128ELi16ELi4ELi4ELi4ELi1ENSS_IJLi8ELi2EEEES1S_NSS_IJLi8ELi1ELi1ELi4EEEENSS_IJLi2ELi1ELi128ELi1EEEENSS_IJLi1ELi2ELi0ELi3EEEES1V_NSS_IJLi4ELi1ELi1ELi4EEEES1V_NSS_IJLi1ELi1ELi1ELi4EEEES1T_S1U_S1V_S1V_S1W_S1V_S1X_NSS_IJLi0ELi1ELi2ELi3ELi4ELi5EEEELi5ELi4EEEaNS5_IJPKaEEEaS8_S8_S9_NSB_INS5_IJSE_SG_SI_SG_SG_SK_SG_SM_SM_SO_SO_SQ_SG_SG_NSP_INS5_IJiNS_17integral_constantIiLi128EEEEEELb0EEENSF_INS23_IiLi4EEEEEEEENS5_IJST_SU_SV_SW_SX_SY_SZ_S10_S11_S12_S13_S14_S15_NSS_IJLi15EEEES1C_NSS_IJLi16EEEEEEENS5_IJS17_SX_SY_SZ_S18_S19_S1A_S12_S13_S15_S14_S1B_S1C_NSS_IJLi18EEEENSS_IJLi19ELi20EEEENSS_IJLi21EEEEEEENSS_IJLi18ELi19ELi20ELi21EEEElEENSB_INS5_IJSQ_SO_SO_SQ_SG_SG_S26_S28_EEENS5_IJST_SU_SV_SX_SW_SY_S18_SZ_EEENS5_IJS1I_SW_SX_S1J_S18_NSS_IJLi8EEEENSS_IJLi9ELi10EEEES12_EEENSS_IJLi8ELi9ELi10ELi11EEEElEENS5_IJNSB_INS5_IJSK_SO_SO_NSP_INS5_IJiNS23_IiLi2EEENS23_IiLi64EEEEEELb0EEES2T_EEENS5_IJST_SU_SV_SW_SX_EEENS5_IJS1I_SW_SX_NSS_IJLi5ELi6ELi7EEEENSS_IJLi8ELi9ELi10EEEEEEENSS_IJLi5ELi6ELi7ELi8ELi9ELi10EEEElEEEEES30_NS_31BlockToCTileMap_M00_N00_M01_N01ILi128ELi128ES1R_Lb0EEENS1_30ComputePtrOffsetOfStridedBatchILi1ELi1ELi1EvEELb0ELb0EEEvPKT0_S38_T1_PT2_T3_T4_T5_iT6_T7_T8_T9_T10_T11_,"axG",@progbits,_ZN2ck16tensor_operation6device12_GLOBAL__N_137kernel_grouped_conv_fwd_dl_multiple_dINS_32GridwiseGemmDlMultipleD_km_kn_mnILi256EaiNS_5TupleIJaEEEaNS0_12element_wise11PassThroughES8_NS7_7AddReluELNS_25InMemoryDataOperationEnumE0ENS_16TensorDescriptorINS5_IJNS_5EmbedINS5_IJiiiEEESD_Lb0EEENS_11PassThroughIiEENS_3PadIiiiLb0EEESG_SG_NSC_INS5_IJiiEEESJ_Lb0EEESG_NS_23Merge_v2_magic_divisionISJ_EESM_NS_8RightPadIiiLb0EEESO_NS_7UnMergeISJ_Lb0EEESG_EEENS5_IJNS_8SequenceIJLi0EEEENSS_IJLi1EEEENSS_IJLi2EEEENSS_IJLi3EEEENSS_IJLi4EEEENSS_IJLi5EEEENSS_IJLi6EEEENSS_IJLi7ELi9EEEENSS_IJLi8ELi10EEEENSS_IJLi11EEEENSS_IJLi12EEEENSS_IJLi14EEEENSS_IJLi13EEEEEEENS5_IJNSS_IJLi1ELi2ELi3EEEESX_SY_SZ_NSS_IJLi7EEEENSS_IJLi8ELi9EEEENSS_IJLi10EEEES12_S13_S15_S14_NSS_IJLi15ELi16EEEENSS_IJLi17EEEEEEENSS_IJLi15ELi17ELi16EEEElEENSB_INS5_IJSQ_SO_SO_SQ_SG_EEENS5_IJST_SU_SV_SX_SW_EEENS5_IJNSS_IJLi1ELi2EEEESW_SX_NSS_IJLi5ELi6EEEES18_EEENSS_IJLi5ELi7ELi6EEEElEENSB_INS5_IJSK_SO_SO_EEENS5_IJST_SU_SV_EEENS5_IJS1I_SW_SX_EEENSS_IJLi3ELi4EEEElEELi128ELi128ELi16ELi4ELi4ELi4ELi1ENSS_IJLi8ELi2EEEES1S_NSS_IJLi8ELi1ELi1ELi4EEEENSS_IJLi2ELi1ELi128ELi1EEEENSS_IJLi1ELi2ELi0ELi3EEEES1V_NSS_IJLi4ELi1ELi1ELi4EEEES1V_NSS_IJLi1ELi1ELi1ELi4EEEES1T_S1U_S1V_S1V_S1W_S1V_S1X_NSS_IJLi0ELi1ELi2ELi3ELi4ELi5EEEELi5ELi4EEEaNS5_IJPKaEEEaS8_S8_S9_NSB_INS5_IJSE_SG_SI_SG_SG_SK_SG_SM_SM_SO_SO_SQ_SG_SG_NSP_INS5_IJiNS_17integral_constantIiLi128EEEEEELb0EEENSF_INS23_IiLi4EEEEEEEENS5_IJST_SU_SV_SW_SX_SY_SZ_S10_S11_S12_S13_S14_S15_NSS_IJLi15EEEES1C_NSS_IJLi16EEEEEEENS5_IJS17_SX_SY_SZ_S18_S19_S1A_S12_S13_S15_S14_S1B_S1C_NSS_IJLi18EEEENSS_IJLi19ELi20EEEENSS_IJLi21EEEEEEENSS_IJLi18ELi19ELi20ELi21EEEElEENSB_INS5_IJSQ_SO_SO_SQ_SG_SG_S26_S28_EEENS5_IJST_SU_SV_SX_SW_SY_S18_SZ_EEENS5_IJS1I_SW_SX_S1J_S18_NSS_IJLi8EEEENSS_IJLi9ELi10EEEES12_EEENSS_IJLi8ELi9ELi10ELi11EEEElEENS5_IJNSB_INS5_IJSK_SO_SO_NSP_INS5_IJiNS23_IiLi2EEENS23_IiLi64EEEEEELb0EEES2T_EEENS5_IJST_SU_SV_SW_SX_EEENS5_IJS1I_SW_SX_NSS_IJLi5ELi6ELi7EEEENSS_IJLi8ELi9ELi10EEEEEEENSS_IJLi5ELi6ELi7ELi8ELi9ELi10EEEElEEEEES30_NS_31BlockToCTileMap_M00_N00_M01_N01ILi128ELi128ES1R_Lb0EEENS1_30ComputePtrOffsetOfStridedBatchILi1ELi1ELi1EvEELb0ELb0EEEvPKT0_S38_T1_PT2_T3_T4_T5_iT6_T7_T8_T9_T10_T11_,comdat
.Lfunc_end4:
	.size	_ZN2ck16tensor_operation6device12_GLOBAL__N_137kernel_grouped_conv_fwd_dl_multiple_dINS_32GridwiseGemmDlMultipleD_km_kn_mnILi256EaiNS_5TupleIJaEEEaNS0_12element_wise11PassThroughES8_NS7_7AddReluELNS_25InMemoryDataOperationEnumE0ENS_16TensorDescriptorINS5_IJNS_5EmbedINS5_IJiiiEEESD_Lb0EEENS_11PassThroughIiEENS_3PadIiiiLb0EEESG_SG_NSC_INS5_IJiiEEESJ_Lb0EEESG_NS_23Merge_v2_magic_divisionISJ_EESM_NS_8RightPadIiiLb0EEESO_NS_7UnMergeISJ_Lb0EEESG_EEENS5_IJNS_8SequenceIJLi0EEEENSS_IJLi1EEEENSS_IJLi2EEEENSS_IJLi3EEEENSS_IJLi4EEEENSS_IJLi5EEEENSS_IJLi6EEEENSS_IJLi7ELi9EEEENSS_IJLi8ELi10EEEENSS_IJLi11EEEENSS_IJLi12EEEENSS_IJLi14EEEENSS_IJLi13EEEEEEENS5_IJNSS_IJLi1ELi2ELi3EEEESX_SY_SZ_NSS_IJLi7EEEENSS_IJLi8ELi9EEEENSS_IJLi10EEEES12_S13_S15_S14_NSS_IJLi15ELi16EEEENSS_IJLi17EEEEEEENSS_IJLi15ELi17ELi16EEEElEENSB_INS5_IJSQ_SO_SO_SQ_SG_EEENS5_IJST_SU_SV_SX_SW_EEENS5_IJNSS_IJLi1ELi2EEEESW_SX_NSS_IJLi5ELi6EEEES18_EEENSS_IJLi5ELi7ELi6EEEElEENSB_INS5_IJSK_SO_SO_EEENS5_IJST_SU_SV_EEENS5_IJS1I_SW_SX_EEENSS_IJLi3ELi4EEEElEELi128ELi128ELi16ELi4ELi4ELi4ELi1ENSS_IJLi8ELi2EEEES1S_NSS_IJLi8ELi1ELi1ELi4EEEENSS_IJLi2ELi1ELi128ELi1EEEENSS_IJLi1ELi2ELi0ELi3EEEES1V_NSS_IJLi4ELi1ELi1ELi4EEEES1V_NSS_IJLi1ELi1ELi1ELi4EEEES1T_S1U_S1V_S1V_S1W_S1V_S1X_NSS_IJLi0ELi1ELi2ELi3ELi4ELi5EEEELi5ELi4EEEaNS5_IJPKaEEEaS8_S8_S9_NSB_INS5_IJSE_SG_SI_SG_SG_SK_SG_SM_SM_SO_SO_SQ_SG_SG_NSP_INS5_IJiNS_17integral_constantIiLi128EEEEEELb0EEENSF_INS23_IiLi4EEEEEEEENS5_IJST_SU_SV_SW_SX_SY_SZ_S10_S11_S12_S13_S14_S15_NSS_IJLi15EEEES1C_NSS_IJLi16EEEEEEENS5_IJS17_SX_SY_SZ_S18_S19_S1A_S12_S13_S15_S14_S1B_S1C_NSS_IJLi18EEEENSS_IJLi19ELi20EEEENSS_IJLi21EEEEEEENSS_IJLi18ELi19ELi20ELi21EEEElEENSB_INS5_IJSQ_SO_SO_SQ_SG_SG_S26_S28_EEENS5_IJST_SU_SV_SX_SW_SY_S18_SZ_EEENS5_IJS1I_SW_SX_S1J_S18_NSS_IJLi8EEEENSS_IJLi9ELi10EEEES12_EEENSS_IJLi8ELi9ELi10ELi11EEEElEENS5_IJNSB_INS5_IJSK_SO_SO_NSP_INS5_IJiNS23_IiLi2EEENS23_IiLi64EEEEEELb0EEES2T_EEENS5_IJST_SU_SV_SW_SX_EEENS5_IJS1I_SW_SX_NSS_IJLi5ELi6ELi7EEEENSS_IJLi8ELi9ELi10EEEEEEENSS_IJLi5ELi6ELi7ELi8ELi9ELi10EEEElEEEEES30_NS_31BlockToCTileMap_M00_N00_M01_N01ILi128ELi128ES1R_Lb0EEENS1_30ComputePtrOffsetOfStridedBatchILi1ELi1ELi1EvEELb0ELb0EEEvPKT0_S38_T1_PT2_T3_T4_T5_iT6_T7_T8_T9_T10_T11_, .Lfunc_end4-_ZN2ck16tensor_operation6device12_GLOBAL__N_137kernel_grouped_conv_fwd_dl_multiple_dINS_32GridwiseGemmDlMultipleD_km_kn_mnILi256EaiNS_5TupleIJaEEEaNS0_12element_wise11PassThroughES8_NS7_7AddReluELNS_25InMemoryDataOperationEnumE0ENS_16TensorDescriptorINS5_IJNS_5EmbedINS5_IJiiiEEESD_Lb0EEENS_11PassThroughIiEENS_3PadIiiiLb0EEESG_SG_NSC_INS5_IJiiEEESJ_Lb0EEESG_NS_23Merge_v2_magic_divisionISJ_EESM_NS_8RightPadIiiLb0EEESO_NS_7UnMergeISJ_Lb0EEESG_EEENS5_IJNS_8SequenceIJLi0EEEENSS_IJLi1EEEENSS_IJLi2EEEENSS_IJLi3EEEENSS_IJLi4EEEENSS_IJLi5EEEENSS_IJLi6EEEENSS_IJLi7ELi9EEEENSS_IJLi8ELi10EEEENSS_IJLi11EEEENSS_IJLi12EEEENSS_IJLi14EEEENSS_IJLi13EEEEEEENS5_IJNSS_IJLi1ELi2ELi3EEEESX_SY_SZ_NSS_IJLi7EEEENSS_IJLi8ELi9EEEENSS_IJLi10EEEES12_S13_S15_S14_NSS_IJLi15ELi16EEEENSS_IJLi17EEEEEEENSS_IJLi15ELi17ELi16EEEElEENSB_INS5_IJSQ_SO_SO_SQ_SG_EEENS5_IJST_SU_SV_SX_SW_EEENS5_IJNSS_IJLi1ELi2EEEESW_SX_NSS_IJLi5ELi6EEEES18_EEENSS_IJLi5ELi7ELi6EEEElEENSB_INS5_IJSK_SO_SO_EEENS5_IJST_SU_SV_EEENS5_IJS1I_SW_SX_EEENSS_IJLi3ELi4EEEElEELi128ELi128ELi16ELi4ELi4ELi4ELi1ENSS_IJLi8ELi2EEEES1S_NSS_IJLi8ELi1ELi1ELi4EEEENSS_IJLi2ELi1ELi128ELi1EEEENSS_IJLi1ELi2ELi0ELi3EEEES1V_NSS_IJLi4ELi1ELi1ELi4EEEES1V_NSS_IJLi1ELi1ELi1ELi4EEEES1T_S1U_S1V_S1V_S1W_S1V_S1X_NSS_IJLi0ELi1ELi2ELi3ELi4ELi5EEEELi5ELi4EEEaNS5_IJPKaEEEaS8_S8_S9_NSB_INS5_IJSE_SG_SI_SG_SG_SK_SG_SM_SM_SO_SO_SQ_SG_SG_NSP_INS5_IJiNS_17integral_constantIiLi128EEEEEELb0EEENSF_INS23_IiLi4EEEEEEEENS5_IJST_SU_SV_SW_SX_SY_SZ_S10_S11_S12_S13_S14_S15_NSS_IJLi15EEEES1C_NSS_IJLi16EEEEEEENS5_IJS17_SX_SY_SZ_S18_S19_S1A_S12_S13_S15_S14_S1B_S1C_NSS_IJLi18EEEENSS_IJLi19ELi20EEEENSS_IJLi21EEEEEEENSS_IJLi18ELi19ELi20ELi21EEEElEENSB_INS5_IJSQ_SO_SO_SQ_SG_SG_S26_S28_EEENS5_IJST_SU_SV_SX_SW_SY_S18_SZ_EEENS5_IJS1I_SW_SX_S1J_S18_NSS_IJLi8EEEENSS_IJLi9ELi10EEEES12_EEENSS_IJLi8ELi9ELi10ELi11EEEElEENS5_IJNSB_INS5_IJSK_SO_SO_NSP_INS5_IJiNS23_IiLi2EEENS23_IiLi64EEEEEELb0EEES2T_EEENS5_IJST_SU_SV_SW_SX_EEENS5_IJS1I_SW_SX_NSS_IJLi5ELi6ELi7EEEENSS_IJLi8ELi9ELi10EEEEEEENSS_IJLi5ELi6ELi7ELi8ELi9ELi10EEEElEEEEES30_NS_31BlockToCTileMap_M00_N00_M01_N01ILi128ELi128ES1R_Lb0EEENS1_30ComputePtrOffsetOfStridedBatchILi1ELi1ELi1EvEELb0ELb0EEEvPKT0_S38_T1_PT2_T3_T4_T5_iT6_T7_T8_T9_T10_T11_
                                        ; -- End function
	.set _ZN2ck16tensor_operation6device12_GLOBAL__N_137kernel_grouped_conv_fwd_dl_multiple_dINS_32GridwiseGemmDlMultipleD_km_kn_mnILi256EaiNS_5TupleIJaEEEaNS0_12element_wise11PassThroughES8_NS7_7AddReluELNS_25InMemoryDataOperationEnumE0ENS_16TensorDescriptorINS5_IJNS_5EmbedINS5_IJiiiEEESD_Lb0EEENS_11PassThroughIiEENS_3PadIiiiLb0EEESG_SG_NSC_INS5_IJiiEEESJ_Lb0EEESG_NS_23Merge_v2_magic_divisionISJ_EESM_NS_8RightPadIiiLb0EEESO_NS_7UnMergeISJ_Lb0EEESG_EEENS5_IJNS_8SequenceIJLi0EEEENSS_IJLi1EEEENSS_IJLi2EEEENSS_IJLi3EEEENSS_IJLi4EEEENSS_IJLi5EEEENSS_IJLi6EEEENSS_IJLi7ELi9EEEENSS_IJLi8ELi10EEEENSS_IJLi11EEEENSS_IJLi12EEEENSS_IJLi14EEEENSS_IJLi13EEEEEEENS5_IJNSS_IJLi1ELi2ELi3EEEESX_SY_SZ_NSS_IJLi7EEEENSS_IJLi8ELi9EEEENSS_IJLi10EEEES12_S13_S15_S14_NSS_IJLi15ELi16EEEENSS_IJLi17EEEEEEENSS_IJLi15ELi17ELi16EEEElEENSB_INS5_IJSQ_SO_SO_SQ_SG_EEENS5_IJST_SU_SV_SX_SW_EEENS5_IJNSS_IJLi1ELi2EEEESW_SX_NSS_IJLi5ELi6EEEES18_EEENSS_IJLi5ELi7ELi6EEEElEENSB_INS5_IJSK_SO_SO_EEENS5_IJST_SU_SV_EEENS5_IJS1I_SW_SX_EEENSS_IJLi3ELi4EEEElEELi128ELi128ELi16ELi4ELi4ELi4ELi1ENSS_IJLi8ELi2EEEES1S_NSS_IJLi8ELi1ELi1ELi4EEEENSS_IJLi2ELi1ELi128ELi1EEEENSS_IJLi1ELi2ELi0ELi3EEEES1V_NSS_IJLi4ELi1ELi1ELi4EEEES1V_NSS_IJLi1ELi1ELi1ELi4EEEES1T_S1U_S1V_S1V_S1W_S1V_S1X_NSS_IJLi0ELi1ELi2ELi3ELi4ELi5EEEELi5ELi4EEEaNS5_IJPKaEEEaS8_S8_S9_NSB_INS5_IJSE_SG_SI_SG_SG_SK_SG_SM_SM_SO_SO_SQ_SG_SG_NSP_INS5_IJiNS_17integral_constantIiLi128EEEEEELb0EEENSF_INS23_IiLi4EEEEEEEENS5_IJST_SU_SV_SW_SX_SY_SZ_S10_S11_S12_S13_S14_S15_NSS_IJLi15EEEES1C_NSS_IJLi16EEEEEEENS5_IJS17_SX_SY_SZ_S18_S19_S1A_S12_S13_S15_S14_S1B_S1C_NSS_IJLi18EEEENSS_IJLi19ELi20EEEENSS_IJLi21EEEEEEENSS_IJLi18ELi19ELi20ELi21EEEElEENSB_INS5_IJSQ_SO_SO_SQ_SG_SG_S26_S28_EEENS5_IJST_SU_SV_SX_SW_SY_S18_SZ_EEENS5_IJS1I_SW_SX_S1J_S18_NSS_IJLi8EEEENSS_IJLi9ELi10EEEES12_EEENSS_IJLi8ELi9ELi10ELi11EEEElEENS5_IJNSB_INS5_IJSK_SO_SO_NSP_INS5_IJiNS23_IiLi2EEENS23_IiLi64EEEEEELb0EEES2T_EEENS5_IJST_SU_SV_SW_SX_EEENS5_IJS1I_SW_SX_NSS_IJLi5ELi6ELi7EEEENSS_IJLi8ELi9ELi10EEEEEEENSS_IJLi5ELi6ELi7ELi8ELi9ELi10EEEElEEEEES30_NS_31BlockToCTileMap_M00_N00_M01_N01ILi128ELi128ES1R_Lb0EEENS1_30ComputePtrOffsetOfStridedBatchILi1ELi1ELi1EvEELb0ELb0EEEvPKT0_S38_T1_PT2_T3_T4_T5_iT6_T7_T8_T9_T10_T11_.num_vgpr, 149
	.set _ZN2ck16tensor_operation6device12_GLOBAL__N_137kernel_grouped_conv_fwd_dl_multiple_dINS_32GridwiseGemmDlMultipleD_km_kn_mnILi256EaiNS_5TupleIJaEEEaNS0_12element_wise11PassThroughES8_NS7_7AddReluELNS_25InMemoryDataOperationEnumE0ENS_16TensorDescriptorINS5_IJNS_5EmbedINS5_IJiiiEEESD_Lb0EEENS_11PassThroughIiEENS_3PadIiiiLb0EEESG_SG_NSC_INS5_IJiiEEESJ_Lb0EEESG_NS_23Merge_v2_magic_divisionISJ_EESM_NS_8RightPadIiiLb0EEESO_NS_7UnMergeISJ_Lb0EEESG_EEENS5_IJNS_8SequenceIJLi0EEEENSS_IJLi1EEEENSS_IJLi2EEEENSS_IJLi3EEEENSS_IJLi4EEEENSS_IJLi5EEEENSS_IJLi6EEEENSS_IJLi7ELi9EEEENSS_IJLi8ELi10EEEENSS_IJLi11EEEENSS_IJLi12EEEENSS_IJLi14EEEENSS_IJLi13EEEEEEENS5_IJNSS_IJLi1ELi2ELi3EEEESX_SY_SZ_NSS_IJLi7EEEENSS_IJLi8ELi9EEEENSS_IJLi10EEEES12_S13_S15_S14_NSS_IJLi15ELi16EEEENSS_IJLi17EEEEEEENSS_IJLi15ELi17ELi16EEEElEENSB_INS5_IJSQ_SO_SO_SQ_SG_EEENS5_IJST_SU_SV_SX_SW_EEENS5_IJNSS_IJLi1ELi2EEEESW_SX_NSS_IJLi5ELi6EEEES18_EEENSS_IJLi5ELi7ELi6EEEElEENSB_INS5_IJSK_SO_SO_EEENS5_IJST_SU_SV_EEENS5_IJS1I_SW_SX_EEENSS_IJLi3ELi4EEEElEELi128ELi128ELi16ELi4ELi4ELi4ELi1ENSS_IJLi8ELi2EEEES1S_NSS_IJLi8ELi1ELi1ELi4EEEENSS_IJLi2ELi1ELi128ELi1EEEENSS_IJLi1ELi2ELi0ELi3EEEES1V_NSS_IJLi4ELi1ELi1ELi4EEEES1V_NSS_IJLi1ELi1ELi1ELi4EEEES1T_S1U_S1V_S1V_S1W_S1V_S1X_NSS_IJLi0ELi1ELi2ELi3ELi4ELi5EEEELi5ELi4EEEaNS5_IJPKaEEEaS8_S8_S9_NSB_INS5_IJSE_SG_SI_SG_SG_SK_SG_SM_SM_SO_SO_SQ_SG_SG_NSP_INS5_IJiNS_17integral_constantIiLi128EEEEEELb0EEENSF_INS23_IiLi4EEEEEEEENS5_IJST_SU_SV_SW_SX_SY_SZ_S10_S11_S12_S13_S14_S15_NSS_IJLi15EEEES1C_NSS_IJLi16EEEEEEENS5_IJS17_SX_SY_SZ_S18_S19_S1A_S12_S13_S15_S14_S1B_S1C_NSS_IJLi18EEEENSS_IJLi19ELi20EEEENSS_IJLi21EEEEEEENSS_IJLi18ELi19ELi20ELi21EEEElEENSB_INS5_IJSQ_SO_SO_SQ_SG_SG_S26_S28_EEENS5_IJST_SU_SV_SX_SW_SY_S18_SZ_EEENS5_IJS1I_SW_SX_S1J_S18_NSS_IJLi8EEEENSS_IJLi9ELi10EEEES12_EEENSS_IJLi8ELi9ELi10ELi11EEEElEENS5_IJNSB_INS5_IJSK_SO_SO_NSP_INS5_IJiNS23_IiLi2EEENS23_IiLi64EEEEEELb0EEES2T_EEENS5_IJST_SU_SV_SW_SX_EEENS5_IJS1I_SW_SX_NSS_IJLi5ELi6ELi7EEEENSS_IJLi8ELi9ELi10EEEEEEENSS_IJLi5ELi6ELi7ELi8ELi9ELi10EEEElEEEEES30_NS_31BlockToCTileMap_M00_N00_M01_N01ILi128ELi128ES1R_Lb0EEENS1_30ComputePtrOffsetOfStridedBatchILi1ELi1ELi1EvEELb0ELb0EEEvPKT0_S38_T1_PT2_T3_T4_T5_iT6_T7_T8_T9_T10_T11_.num_agpr, 0
	.set _ZN2ck16tensor_operation6device12_GLOBAL__N_137kernel_grouped_conv_fwd_dl_multiple_dINS_32GridwiseGemmDlMultipleD_km_kn_mnILi256EaiNS_5TupleIJaEEEaNS0_12element_wise11PassThroughES8_NS7_7AddReluELNS_25InMemoryDataOperationEnumE0ENS_16TensorDescriptorINS5_IJNS_5EmbedINS5_IJiiiEEESD_Lb0EEENS_11PassThroughIiEENS_3PadIiiiLb0EEESG_SG_NSC_INS5_IJiiEEESJ_Lb0EEESG_NS_23Merge_v2_magic_divisionISJ_EESM_NS_8RightPadIiiLb0EEESO_NS_7UnMergeISJ_Lb0EEESG_EEENS5_IJNS_8SequenceIJLi0EEEENSS_IJLi1EEEENSS_IJLi2EEEENSS_IJLi3EEEENSS_IJLi4EEEENSS_IJLi5EEEENSS_IJLi6EEEENSS_IJLi7ELi9EEEENSS_IJLi8ELi10EEEENSS_IJLi11EEEENSS_IJLi12EEEENSS_IJLi14EEEENSS_IJLi13EEEEEEENS5_IJNSS_IJLi1ELi2ELi3EEEESX_SY_SZ_NSS_IJLi7EEEENSS_IJLi8ELi9EEEENSS_IJLi10EEEES12_S13_S15_S14_NSS_IJLi15ELi16EEEENSS_IJLi17EEEEEEENSS_IJLi15ELi17ELi16EEEElEENSB_INS5_IJSQ_SO_SO_SQ_SG_EEENS5_IJST_SU_SV_SX_SW_EEENS5_IJNSS_IJLi1ELi2EEEESW_SX_NSS_IJLi5ELi6EEEES18_EEENSS_IJLi5ELi7ELi6EEEElEENSB_INS5_IJSK_SO_SO_EEENS5_IJST_SU_SV_EEENS5_IJS1I_SW_SX_EEENSS_IJLi3ELi4EEEElEELi128ELi128ELi16ELi4ELi4ELi4ELi1ENSS_IJLi8ELi2EEEES1S_NSS_IJLi8ELi1ELi1ELi4EEEENSS_IJLi2ELi1ELi128ELi1EEEENSS_IJLi1ELi2ELi0ELi3EEEES1V_NSS_IJLi4ELi1ELi1ELi4EEEES1V_NSS_IJLi1ELi1ELi1ELi4EEEES1T_S1U_S1V_S1V_S1W_S1V_S1X_NSS_IJLi0ELi1ELi2ELi3ELi4ELi5EEEELi5ELi4EEEaNS5_IJPKaEEEaS8_S8_S9_NSB_INS5_IJSE_SG_SI_SG_SG_SK_SG_SM_SM_SO_SO_SQ_SG_SG_NSP_INS5_IJiNS_17integral_constantIiLi128EEEEEELb0EEENSF_INS23_IiLi4EEEEEEEENS5_IJST_SU_SV_SW_SX_SY_SZ_S10_S11_S12_S13_S14_S15_NSS_IJLi15EEEES1C_NSS_IJLi16EEEEEEENS5_IJS17_SX_SY_SZ_S18_S19_S1A_S12_S13_S15_S14_S1B_S1C_NSS_IJLi18EEEENSS_IJLi19ELi20EEEENSS_IJLi21EEEEEEENSS_IJLi18ELi19ELi20ELi21EEEElEENSB_INS5_IJSQ_SO_SO_SQ_SG_SG_S26_S28_EEENS5_IJST_SU_SV_SX_SW_SY_S18_SZ_EEENS5_IJS1I_SW_SX_S1J_S18_NSS_IJLi8EEEENSS_IJLi9ELi10EEEES12_EEENSS_IJLi8ELi9ELi10ELi11EEEElEENS5_IJNSB_INS5_IJSK_SO_SO_NSP_INS5_IJiNS23_IiLi2EEENS23_IiLi64EEEEEELb0EEES2T_EEENS5_IJST_SU_SV_SW_SX_EEENS5_IJS1I_SW_SX_NSS_IJLi5ELi6ELi7EEEENSS_IJLi8ELi9ELi10EEEEEEENSS_IJLi5ELi6ELi7ELi8ELi9ELi10EEEElEEEEES30_NS_31BlockToCTileMap_M00_N00_M01_N01ILi128ELi128ES1R_Lb0EEENS1_30ComputePtrOffsetOfStridedBatchILi1ELi1ELi1EvEELb0ELb0EEEvPKT0_S38_T1_PT2_T3_T4_T5_iT6_T7_T8_T9_T10_T11_.numbered_sgpr, 53
	.set _ZN2ck16tensor_operation6device12_GLOBAL__N_137kernel_grouped_conv_fwd_dl_multiple_dINS_32GridwiseGemmDlMultipleD_km_kn_mnILi256EaiNS_5TupleIJaEEEaNS0_12element_wise11PassThroughES8_NS7_7AddReluELNS_25InMemoryDataOperationEnumE0ENS_16TensorDescriptorINS5_IJNS_5EmbedINS5_IJiiiEEESD_Lb0EEENS_11PassThroughIiEENS_3PadIiiiLb0EEESG_SG_NSC_INS5_IJiiEEESJ_Lb0EEESG_NS_23Merge_v2_magic_divisionISJ_EESM_NS_8RightPadIiiLb0EEESO_NS_7UnMergeISJ_Lb0EEESG_EEENS5_IJNS_8SequenceIJLi0EEEENSS_IJLi1EEEENSS_IJLi2EEEENSS_IJLi3EEEENSS_IJLi4EEEENSS_IJLi5EEEENSS_IJLi6EEEENSS_IJLi7ELi9EEEENSS_IJLi8ELi10EEEENSS_IJLi11EEEENSS_IJLi12EEEENSS_IJLi14EEEENSS_IJLi13EEEEEEENS5_IJNSS_IJLi1ELi2ELi3EEEESX_SY_SZ_NSS_IJLi7EEEENSS_IJLi8ELi9EEEENSS_IJLi10EEEES12_S13_S15_S14_NSS_IJLi15ELi16EEEENSS_IJLi17EEEEEEENSS_IJLi15ELi17ELi16EEEElEENSB_INS5_IJSQ_SO_SO_SQ_SG_EEENS5_IJST_SU_SV_SX_SW_EEENS5_IJNSS_IJLi1ELi2EEEESW_SX_NSS_IJLi5ELi6EEEES18_EEENSS_IJLi5ELi7ELi6EEEElEENSB_INS5_IJSK_SO_SO_EEENS5_IJST_SU_SV_EEENS5_IJS1I_SW_SX_EEENSS_IJLi3ELi4EEEElEELi128ELi128ELi16ELi4ELi4ELi4ELi1ENSS_IJLi8ELi2EEEES1S_NSS_IJLi8ELi1ELi1ELi4EEEENSS_IJLi2ELi1ELi128ELi1EEEENSS_IJLi1ELi2ELi0ELi3EEEES1V_NSS_IJLi4ELi1ELi1ELi4EEEES1V_NSS_IJLi1ELi1ELi1ELi4EEEES1T_S1U_S1V_S1V_S1W_S1V_S1X_NSS_IJLi0ELi1ELi2ELi3ELi4ELi5EEEELi5ELi4EEEaNS5_IJPKaEEEaS8_S8_S9_NSB_INS5_IJSE_SG_SI_SG_SG_SK_SG_SM_SM_SO_SO_SQ_SG_SG_NSP_INS5_IJiNS_17integral_constantIiLi128EEEEEELb0EEENSF_INS23_IiLi4EEEEEEEENS5_IJST_SU_SV_SW_SX_SY_SZ_S10_S11_S12_S13_S14_S15_NSS_IJLi15EEEES1C_NSS_IJLi16EEEEEEENS5_IJS17_SX_SY_SZ_S18_S19_S1A_S12_S13_S15_S14_S1B_S1C_NSS_IJLi18EEEENSS_IJLi19ELi20EEEENSS_IJLi21EEEEEEENSS_IJLi18ELi19ELi20ELi21EEEElEENSB_INS5_IJSQ_SO_SO_SQ_SG_SG_S26_S28_EEENS5_IJST_SU_SV_SX_SW_SY_S18_SZ_EEENS5_IJS1I_SW_SX_S1J_S18_NSS_IJLi8EEEENSS_IJLi9ELi10EEEES12_EEENSS_IJLi8ELi9ELi10ELi11EEEElEENS5_IJNSB_INS5_IJSK_SO_SO_NSP_INS5_IJiNS23_IiLi2EEENS23_IiLi64EEEEEELb0EEES2T_EEENS5_IJST_SU_SV_SW_SX_EEENS5_IJS1I_SW_SX_NSS_IJLi5ELi6ELi7EEEENSS_IJLi8ELi9ELi10EEEEEEENSS_IJLi5ELi6ELi7ELi8ELi9ELi10EEEElEEEEES30_NS_31BlockToCTileMap_M00_N00_M01_N01ILi128ELi128ES1R_Lb0EEENS1_30ComputePtrOffsetOfStridedBatchILi1ELi1ELi1EvEELb0ELb0EEEvPKT0_S38_T1_PT2_T3_T4_T5_iT6_T7_T8_T9_T10_T11_.num_named_barrier, 0
	.set _ZN2ck16tensor_operation6device12_GLOBAL__N_137kernel_grouped_conv_fwd_dl_multiple_dINS_32GridwiseGemmDlMultipleD_km_kn_mnILi256EaiNS_5TupleIJaEEEaNS0_12element_wise11PassThroughES8_NS7_7AddReluELNS_25InMemoryDataOperationEnumE0ENS_16TensorDescriptorINS5_IJNS_5EmbedINS5_IJiiiEEESD_Lb0EEENS_11PassThroughIiEENS_3PadIiiiLb0EEESG_SG_NSC_INS5_IJiiEEESJ_Lb0EEESG_NS_23Merge_v2_magic_divisionISJ_EESM_NS_8RightPadIiiLb0EEESO_NS_7UnMergeISJ_Lb0EEESG_EEENS5_IJNS_8SequenceIJLi0EEEENSS_IJLi1EEEENSS_IJLi2EEEENSS_IJLi3EEEENSS_IJLi4EEEENSS_IJLi5EEEENSS_IJLi6EEEENSS_IJLi7ELi9EEEENSS_IJLi8ELi10EEEENSS_IJLi11EEEENSS_IJLi12EEEENSS_IJLi14EEEENSS_IJLi13EEEEEEENS5_IJNSS_IJLi1ELi2ELi3EEEESX_SY_SZ_NSS_IJLi7EEEENSS_IJLi8ELi9EEEENSS_IJLi10EEEES12_S13_S15_S14_NSS_IJLi15ELi16EEEENSS_IJLi17EEEEEEENSS_IJLi15ELi17ELi16EEEElEENSB_INS5_IJSQ_SO_SO_SQ_SG_EEENS5_IJST_SU_SV_SX_SW_EEENS5_IJNSS_IJLi1ELi2EEEESW_SX_NSS_IJLi5ELi6EEEES18_EEENSS_IJLi5ELi7ELi6EEEElEENSB_INS5_IJSK_SO_SO_EEENS5_IJST_SU_SV_EEENS5_IJS1I_SW_SX_EEENSS_IJLi3ELi4EEEElEELi128ELi128ELi16ELi4ELi4ELi4ELi1ENSS_IJLi8ELi2EEEES1S_NSS_IJLi8ELi1ELi1ELi4EEEENSS_IJLi2ELi1ELi128ELi1EEEENSS_IJLi1ELi2ELi0ELi3EEEES1V_NSS_IJLi4ELi1ELi1ELi4EEEES1V_NSS_IJLi1ELi1ELi1ELi4EEEES1T_S1U_S1V_S1V_S1W_S1V_S1X_NSS_IJLi0ELi1ELi2ELi3ELi4ELi5EEEELi5ELi4EEEaNS5_IJPKaEEEaS8_S8_S9_NSB_INS5_IJSE_SG_SI_SG_SG_SK_SG_SM_SM_SO_SO_SQ_SG_SG_NSP_INS5_IJiNS_17integral_constantIiLi128EEEEEELb0EEENSF_INS23_IiLi4EEEEEEEENS5_IJST_SU_SV_SW_SX_SY_SZ_S10_S11_S12_S13_S14_S15_NSS_IJLi15EEEES1C_NSS_IJLi16EEEEEEENS5_IJS17_SX_SY_SZ_S18_S19_S1A_S12_S13_S15_S14_S1B_S1C_NSS_IJLi18EEEENSS_IJLi19ELi20EEEENSS_IJLi21EEEEEEENSS_IJLi18ELi19ELi20ELi21EEEElEENSB_INS5_IJSQ_SO_SO_SQ_SG_SG_S26_S28_EEENS5_IJST_SU_SV_SX_SW_SY_S18_SZ_EEENS5_IJS1I_SW_SX_S1J_S18_NSS_IJLi8EEEENSS_IJLi9ELi10EEEES12_EEENSS_IJLi8ELi9ELi10ELi11EEEElEENS5_IJNSB_INS5_IJSK_SO_SO_NSP_INS5_IJiNS23_IiLi2EEENS23_IiLi64EEEEEELb0EEES2T_EEENS5_IJST_SU_SV_SW_SX_EEENS5_IJS1I_SW_SX_NSS_IJLi5ELi6ELi7EEEENSS_IJLi8ELi9ELi10EEEEEEENSS_IJLi5ELi6ELi7ELi8ELi9ELi10EEEElEEEEES30_NS_31BlockToCTileMap_M00_N00_M01_N01ILi128ELi128ES1R_Lb0EEENS1_30ComputePtrOffsetOfStridedBatchILi1ELi1ELi1EvEELb0ELb0EEEvPKT0_S38_T1_PT2_T3_T4_T5_iT6_T7_T8_T9_T10_T11_.private_seg_size, 0
	.set _ZN2ck16tensor_operation6device12_GLOBAL__N_137kernel_grouped_conv_fwd_dl_multiple_dINS_32GridwiseGemmDlMultipleD_km_kn_mnILi256EaiNS_5TupleIJaEEEaNS0_12element_wise11PassThroughES8_NS7_7AddReluELNS_25InMemoryDataOperationEnumE0ENS_16TensorDescriptorINS5_IJNS_5EmbedINS5_IJiiiEEESD_Lb0EEENS_11PassThroughIiEENS_3PadIiiiLb0EEESG_SG_NSC_INS5_IJiiEEESJ_Lb0EEESG_NS_23Merge_v2_magic_divisionISJ_EESM_NS_8RightPadIiiLb0EEESO_NS_7UnMergeISJ_Lb0EEESG_EEENS5_IJNS_8SequenceIJLi0EEEENSS_IJLi1EEEENSS_IJLi2EEEENSS_IJLi3EEEENSS_IJLi4EEEENSS_IJLi5EEEENSS_IJLi6EEEENSS_IJLi7ELi9EEEENSS_IJLi8ELi10EEEENSS_IJLi11EEEENSS_IJLi12EEEENSS_IJLi14EEEENSS_IJLi13EEEEEEENS5_IJNSS_IJLi1ELi2ELi3EEEESX_SY_SZ_NSS_IJLi7EEEENSS_IJLi8ELi9EEEENSS_IJLi10EEEES12_S13_S15_S14_NSS_IJLi15ELi16EEEENSS_IJLi17EEEEEEENSS_IJLi15ELi17ELi16EEEElEENSB_INS5_IJSQ_SO_SO_SQ_SG_EEENS5_IJST_SU_SV_SX_SW_EEENS5_IJNSS_IJLi1ELi2EEEESW_SX_NSS_IJLi5ELi6EEEES18_EEENSS_IJLi5ELi7ELi6EEEElEENSB_INS5_IJSK_SO_SO_EEENS5_IJST_SU_SV_EEENS5_IJS1I_SW_SX_EEENSS_IJLi3ELi4EEEElEELi128ELi128ELi16ELi4ELi4ELi4ELi1ENSS_IJLi8ELi2EEEES1S_NSS_IJLi8ELi1ELi1ELi4EEEENSS_IJLi2ELi1ELi128ELi1EEEENSS_IJLi1ELi2ELi0ELi3EEEES1V_NSS_IJLi4ELi1ELi1ELi4EEEES1V_NSS_IJLi1ELi1ELi1ELi4EEEES1T_S1U_S1V_S1V_S1W_S1V_S1X_NSS_IJLi0ELi1ELi2ELi3ELi4ELi5EEEELi5ELi4EEEaNS5_IJPKaEEEaS8_S8_S9_NSB_INS5_IJSE_SG_SI_SG_SG_SK_SG_SM_SM_SO_SO_SQ_SG_SG_NSP_INS5_IJiNS_17integral_constantIiLi128EEEEEELb0EEENSF_INS23_IiLi4EEEEEEEENS5_IJST_SU_SV_SW_SX_SY_SZ_S10_S11_S12_S13_S14_S15_NSS_IJLi15EEEES1C_NSS_IJLi16EEEEEEENS5_IJS17_SX_SY_SZ_S18_S19_S1A_S12_S13_S15_S14_S1B_S1C_NSS_IJLi18EEEENSS_IJLi19ELi20EEEENSS_IJLi21EEEEEEENSS_IJLi18ELi19ELi20ELi21EEEElEENSB_INS5_IJSQ_SO_SO_SQ_SG_SG_S26_S28_EEENS5_IJST_SU_SV_SX_SW_SY_S18_SZ_EEENS5_IJS1I_SW_SX_S1J_S18_NSS_IJLi8EEEENSS_IJLi9ELi10EEEES12_EEENSS_IJLi8ELi9ELi10ELi11EEEElEENS5_IJNSB_INS5_IJSK_SO_SO_NSP_INS5_IJiNS23_IiLi2EEENS23_IiLi64EEEEEELb0EEES2T_EEENS5_IJST_SU_SV_SW_SX_EEENS5_IJS1I_SW_SX_NSS_IJLi5ELi6ELi7EEEENSS_IJLi8ELi9ELi10EEEEEEENSS_IJLi5ELi6ELi7ELi8ELi9ELi10EEEElEEEEES30_NS_31BlockToCTileMap_M00_N00_M01_N01ILi128ELi128ES1R_Lb0EEENS1_30ComputePtrOffsetOfStridedBatchILi1ELi1ELi1EvEELb0ELb0EEEvPKT0_S38_T1_PT2_T3_T4_T5_iT6_T7_T8_T9_T10_T11_.uses_vcc, 1
	.set _ZN2ck16tensor_operation6device12_GLOBAL__N_137kernel_grouped_conv_fwd_dl_multiple_dINS_32GridwiseGemmDlMultipleD_km_kn_mnILi256EaiNS_5TupleIJaEEEaNS0_12element_wise11PassThroughES8_NS7_7AddReluELNS_25InMemoryDataOperationEnumE0ENS_16TensorDescriptorINS5_IJNS_5EmbedINS5_IJiiiEEESD_Lb0EEENS_11PassThroughIiEENS_3PadIiiiLb0EEESG_SG_NSC_INS5_IJiiEEESJ_Lb0EEESG_NS_23Merge_v2_magic_divisionISJ_EESM_NS_8RightPadIiiLb0EEESO_NS_7UnMergeISJ_Lb0EEESG_EEENS5_IJNS_8SequenceIJLi0EEEENSS_IJLi1EEEENSS_IJLi2EEEENSS_IJLi3EEEENSS_IJLi4EEEENSS_IJLi5EEEENSS_IJLi6EEEENSS_IJLi7ELi9EEEENSS_IJLi8ELi10EEEENSS_IJLi11EEEENSS_IJLi12EEEENSS_IJLi14EEEENSS_IJLi13EEEEEEENS5_IJNSS_IJLi1ELi2ELi3EEEESX_SY_SZ_NSS_IJLi7EEEENSS_IJLi8ELi9EEEENSS_IJLi10EEEES12_S13_S15_S14_NSS_IJLi15ELi16EEEENSS_IJLi17EEEEEEENSS_IJLi15ELi17ELi16EEEElEENSB_INS5_IJSQ_SO_SO_SQ_SG_EEENS5_IJST_SU_SV_SX_SW_EEENS5_IJNSS_IJLi1ELi2EEEESW_SX_NSS_IJLi5ELi6EEEES18_EEENSS_IJLi5ELi7ELi6EEEElEENSB_INS5_IJSK_SO_SO_EEENS5_IJST_SU_SV_EEENS5_IJS1I_SW_SX_EEENSS_IJLi3ELi4EEEElEELi128ELi128ELi16ELi4ELi4ELi4ELi1ENSS_IJLi8ELi2EEEES1S_NSS_IJLi8ELi1ELi1ELi4EEEENSS_IJLi2ELi1ELi128ELi1EEEENSS_IJLi1ELi2ELi0ELi3EEEES1V_NSS_IJLi4ELi1ELi1ELi4EEEES1V_NSS_IJLi1ELi1ELi1ELi4EEEES1T_S1U_S1V_S1V_S1W_S1V_S1X_NSS_IJLi0ELi1ELi2ELi3ELi4ELi5EEEELi5ELi4EEEaNS5_IJPKaEEEaS8_S8_S9_NSB_INS5_IJSE_SG_SI_SG_SG_SK_SG_SM_SM_SO_SO_SQ_SG_SG_NSP_INS5_IJiNS_17integral_constantIiLi128EEEEEELb0EEENSF_INS23_IiLi4EEEEEEEENS5_IJST_SU_SV_SW_SX_SY_SZ_S10_S11_S12_S13_S14_S15_NSS_IJLi15EEEES1C_NSS_IJLi16EEEEEEENS5_IJS17_SX_SY_SZ_S18_S19_S1A_S12_S13_S15_S14_S1B_S1C_NSS_IJLi18EEEENSS_IJLi19ELi20EEEENSS_IJLi21EEEEEEENSS_IJLi18ELi19ELi20ELi21EEEElEENSB_INS5_IJSQ_SO_SO_SQ_SG_SG_S26_S28_EEENS5_IJST_SU_SV_SX_SW_SY_S18_SZ_EEENS5_IJS1I_SW_SX_S1J_S18_NSS_IJLi8EEEENSS_IJLi9ELi10EEEES12_EEENSS_IJLi8ELi9ELi10ELi11EEEElEENS5_IJNSB_INS5_IJSK_SO_SO_NSP_INS5_IJiNS23_IiLi2EEENS23_IiLi64EEEEEELb0EEES2T_EEENS5_IJST_SU_SV_SW_SX_EEENS5_IJS1I_SW_SX_NSS_IJLi5ELi6ELi7EEEENSS_IJLi8ELi9ELi10EEEEEEENSS_IJLi5ELi6ELi7ELi8ELi9ELi10EEEElEEEEES30_NS_31BlockToCTileMap_M00_N00_M01_N01ILi128ELi128ES1R_Lb0EEENS1_30ComputePtrOffsetOfStridedBatchILi1ELi1ELi1EvEELb0ELb0EEEvPKT0_S38_T1_PT2_T3_T4_T5_iT6_T7_T8_T9_T10_T11_.uses_flat_scratch, 0
	.set _ZN2ck16tensor_operation6device12_GLOBAL__N_137kernel_grouped_conv_fwd_dl_multiple_dINS_32GridwiseGemmDlMultipleD_km_kn_mnILi256EaiNS_5TupleIJaEEEaNS0_12element_wise11PassThroughES8_NS7_7AddReluELNS_25InMemoryDataOperationEnumE0ENS_16TensorDescriptorINS5_IJNS_5EmbedINS5_IJiiiEEESD_Lb0EEENS_11PassThroughIiEENS_3PadIiiiLb0EEESG_SG_NSC_INS5_IJiiEEESJ_Lb0EEESG_NS_23Merge_v2_magic_divisionISJ_EESM_NS_8RightPadIiiLb0EEESO_NS_7UnMergeISJ_Lb0EEESG_EEENS5_IJNS_8SequenceIJLi0EEEENSS_IJLi1EEEENSS_IJLi2EEEENSS_IJLi3EEEENSS_IJLi4EEEENSS_IJLi5EEEENSS_IJLi6EEEENSS_IJLi7ELi9EEEENSS_IJLi8ELi10EEEENSS_IJLi11EEEENSS_IJLi12EEEENSS_IJLi14EEEENSS_IJLi13EEEEEEENS5_IJNSS_IJLi1ELi2ELi3EEEESX_SY_SZ_NSS_IJLi7EEEENSS_IJLi8ELi9EEEENSS_IJLi10EEEES12_S13_S15_S14_NSS_IJLi15ELi16EEEENSS_IJLi17EEEEEEENSS_IJLi15ELi17ELi16EEEElEENSB_INS5_IJSQ_SO_SO_SQ_SG_EEENS5_IJST_SU_SV_SX_SW_EEENS5_IJNSS_IJLi1ELi2EEEESW_SX_NSS_IJLi5ELi6EEEES18_EEENSS_IJLi5ELi7ELi6EEEElEENSB_INS5_IJSK_SO_SO_EEENS5_IJST_SU_SV_EEENS5_IJS1I_SW_SX_EEENSS_IJLi3ELi4EEEElEELi128ELi128ELi16ELi4ELi4ELi4ELi1ENSS_IJLi8ELi2EEEES1S_NSS_IJLi8ELi1ELi1ELi4EEEENSS_IJLi2ELi1ELi128ELi1EEEENSS_IJLi1ELi2ELi0ELi3EEEES1V_NSS_IJLi4ELi1ELi1ELi4EEEES1V_NSS_IJLi1ELi1ELi1ELi4EEEES1T_S1U_S1V_S1V_S1W_S1V_S1X_NSS_IJLi0ELi1ELi2ELi3ELi4ELi5EEEELi5ELi4EEEaNS5_IJPKaEEEaS8_S8_S9_NSB_INS5_IJSE_SG_SI_SG_SG_SK_SG_SM_SM_SO_SO_SQ_SG_SG_NSP_INS5_IJiNS_17integral_constantIiLi128EEEEEELb0EEENSF_INS23_IiLi4EEEEEEEENS5_IJST_SU_SV_SW_SX_SY_SZ_S10_S11_S12_S13_S14_S15_NSS_IJLi15EEEES1C_NSS_IJLi16EEEEEEENS5_IJS17_SX_SY_SZ_S18_S19_S1A_S12_S13_S15_S14_S1B_S1C_NSS_IJLi18EEEENSS_IJLi19ELi20EEEENSS_IJLi21EEEEEEENSS_IJLi18ELi19ELi20ELi21EEEElEENSB_INS5_IJSQ_SO_SO_SQ_SG_SG_S26_S28_EEENS5_IJST_SU_SV_SX_SW_SY_S18_SZ_EEENS5_IJS1I_SW_SX_S1J_S18_NSS_IJLi8EEEENSS_IJLi9ELi10EEEES12_EEENSS_IJLi8ELi9ELi10ELi11EEEElEENS5_IJNSB_INS5_IJSK_SO_SO_NSP_INS5_IJiNS23_IiLi2EEENS23_IiLi64EEEEEELb0EEES2T_EEENS5_IJST_SU_SV_SW_SX_EEENS5_IJS1I_SW_SX_NSS_IJLi5ELi6ELi7EEEENSS_IJLi8ELi9ELi10EEEEEEENSS_IJLi5ELi6ELi7ELi8ELi9ELi10EEEElEEEEES30_NS_31BlockToCTileMap_M00_N00_M01_N01ILi128ELi128ES1R_Lb0EEENS1_30ComputePtrOffsetOfStridedBatchILi1ELi1ELi1EvEELb0ELb0EEEvPKT0_S38_T1_PT2_T3_T4_T5_iT6_T7_T8_T9_T10_T11_.has_dyn_sized_stack, 0
	.set _ZN2ck16tensor_operation6device12_GLOBAL__N_137kernel_grouped_conv_fwd_dl_multiple_dINS_32GridwiseGemmDlMultipleD_km_kn_mnILi256EaiNS_5TupleIJaEEEaNS0_12element_wise11PassThroughES8_NS7_7AddReluELNS_25InMemoryDataOperationEnumE0ENS_16TensorDescriptorINS5_IJNS_5EmbedINS5_IJiiiEEESD_Lb0EEENS_11PassThroughIiEENS_3PadIiiiLb0EEESG_SG_NSC_INS5_IJiiEEESJ_Lb0EEESG_NS_23Merge_v2_magic_divisionISJ_EESM_NS_8RightPadIiiLb0EEESO_NS_7UnMergeISJ_Lb0EEESG_EEENS5_IJNS_8SequenceIJLi0EEEENSS_IJLi1EEEENSS_IJLi2EEEENSS_IJLi3EEEENSS_IJLi4EEEENSS_IJLi5EEEENSS_IJLi6EEEENSS_IJLi7ELi9EEEENSS_IJLi8ELi10EEEENSS_IJLi11EEEENSS_IJLi12EEEENSS_IJLi14EEEENSS_IJLi13EEEEEEENS5_IJNSS_IJLi1ELi2ELi3EEEESX_SY_SZ_NSS_IJLi7EEEENSS_IJLi8ELi9EEEENSS_IJLi10EEEES12_S13_S15_S14_NSS_IJLi15ELi16EEEENSS_IJLi17EEEEEEENSS_IJLi15ELi17ELi16EEEElEENSB_INS5_IJSQ_SO_SO_SQ_SG_EEENS5_IJST_SU_SV_SX_SW_EEENS5_IJNSS_IJLi1ELi2EEEESW_SX_NSS_IJLi5ELi6EEEES18_EEENSS_IJLi5ELi7ELi6EEEElEENSB_INS5_IJSK_SO_SO_EEENS5_IJST_SU_SV_EEENS5_IJS1I_SW_SX_EEENSS_IJLi3ELi4EEEElEELi128ELi128ELi16ELi4ELi4ELi4ELi1ENSS_IJLi8ELi2EEEES1S_NSS_IJLi8ELi1ELi1ELi4EEEENSS_IJLi2ELi1ELi128ELi1EEEENSS_IJLi1ELi2ELi0ELi3EEEES1V_NSS_IJLi4ELi1ELi1ELi4EEEES1V_NSS_IJLi1ELi1ELi1ELi4EEEES1T_S1U_S1V_S1V_S1W_S1V_S1X_NSS_IJLi0ELi1ELi2ELi3ELi4ELi5EEEELi5ELi4EEEaNS5_IJPKaEEEaS8_S8_S9_NSB_INS5_IJSE_SG_SI_SG_SG_SK_SG_SM_SM_SO_SO_SQ_SG_SG_NSP_INS5_IJiNS_17integral_constantIiLi128EEEEEELb0EEENSF_INS23_IiLi4EEEEEEEENS5_IJST_SU_SV_SW_SX_SY_SZ_S10_S11_S12_S13_S14_S15_NSS_IJLi15EEEES1C_NSS_IJLi16EEEEEEENS5_IJS17_SX_SY_SZ_S18_S19_S1A_S12_S13_S15_S14_S1B_S1C_NSS_IJLi18EEEENSS_IJLi19ELi20EEEENSS_IJLi21EEEEEEENSS_IJLi18ELi19ELi20ELi21EEEElEENSB_INS5_IJSQ_SO_SO_SQ_SG_SG_S26_S28_EEENS5_IJST_SU_SV_SX_SW_SY_S18_SZ_EEENS5_IJS1I_SW_SX_S1J_S18_NSS_IJLi8EEEENSS_IJLi9ELi10EEEES12_EEENSS_IJLi8ELi9ELi10ELi11EEEElEENS5_IJNSB_INS5_IJSK_SO_SO_NSP_INS5_IJiNS23_IiLi2EEENS23_IiLi64EEEEEELb0EEES2T_EEENS5_IJST_SU_SV_SW_SX_EEENS5_IJS1I_SW_SX_NSS_IJLi5ELi6ELi7EEEENSS_IJLi8ELi9ELi10EEEEEEENSS_IJLi5ELi6ELi7ELi8ELi9ELi10EEEElEEEEES30_NS_31BlockToCTileMap_M00_N00_M01_N01ILi128ELi128ES1R_Lb0EEENS1_30ComputePtrOffsetOfStridedBatchILi1ELi1ELi1EvEELb0ELb0EEEvPKT0_S38_T1_PT2_T3_T4_T5_iT6_T7_T8_T9_T10_T11_.has_recursion, 0
	.set _ZN2ck16tensor_operation6device12_GLOBAL__N_137kernel_grouped_conv_fwd_dl_multiple_dINS_32GridwiseGemmDlMultipleD_km_kn_mnILi256EaiNS_5TupleIJaEEEaNS0_12element_wise11PassThroughES8_NS7_7AddReluELNS_25InMemoryDataOperationEnumE0ENS_16TensorDescriptorINS5_IJNS_5EmbedINS5_IJiiiEEESD_Lb0EEENS_11PassThroughIiEENS_3PadIiiiLb0EEESG_SG_NSC_INS5_IJiiEEESJ_Lb0EEESG_NS_23Merge_v2_magic_divisionISJ_EESM_NS_8RightPadIiiLb0EEESO_NS_7UnMergeISJ_Lb0EEESG_EEENS5_IJNS_8SequenceIJLi0EEEENSS_IJLi1EEEENSS_IJLi2EEEENSS_IJLi3EEEENSS_IJLi4EEEENSS_IJLi5EEEENSS_IJLi6EEEENSS_IJLi7ELi9EEEENSS_IJLi8ELi10EEEENSS_IJLi11EEEENSS_IJLi12EEEENSS_IJLi14EEEENSS_IJLi13EEEEEEENS5_IJNSS_IJLi1ELi2ELi3EEEESX_SY_SZ_NSS_IJLi7EEEENSS_IJLi8ELi9EEEENSS_IJLi10EEEES12_S13_S15_S14_NSS_IJLi15ELi16EEEENSS_IJLi17EEEEEEENSS_IJLi15ELi17ELi16EEEElEENSB_INS5_IJSQ_SO_SO_SQ_SG_EEENS5_IJST_SU_SV_SX_SW_EEENS5_IJNSS_IJLi1ELi2EEEESW_SX_NSS_IJLi5ELi6EEEES18_EEENSS_IJLi5ELi7ELi6EEEElEENSB_INS5_IJSK_SO_SO_EEENS5_IJST_SU_SV_EEENS5_IJS1I_SW_SX_EEENSS_IJLi3ELi4EEEElEELi128ELi128ELi16ELi4ELi4ELi4ELi1ENSS_IJLi8ELi2EEEES1S_NSS_IJLi8ELi1ELi1ELi4EEEENSS_IJLi2ELi1ELi128ELi1EEEENSS_IJLi1ELi2ELi0ELi3EEEES1V_NSS_IJLi4ELi1ELi1ELi4EEEES1V_NSS_IJLi1ELi1ELi1ELi4EEEES1T_S1U_S1V_S1V_S1W_S1V_S1X_NSS_IJLi0ELi1ELi2ELi3ELi4ELi5EEEELi5ELi4EEEaNS5_IJPKaEEEaS8_S8_S9_NSB_INS5_IJSE_SG_SI_SG_SG_SK_SG_SM_SM_SO_SO_SQ_SG_SG_NSP_INS5_IJiNS_17integral_constantIiLi128EEEEEELb0EEENSF_INS23_IiLi4EEEEEEEENS5_IJST_SU_SV_SW_SX_SY_SZ_S10_S11_S12_S13_S14_S15_NSS_IJLi15EEEES1C_NSS_IJLi16EEEEEEENS5_IJS17_SX_SY_SZ_S18_S19_S1A_S12_S13_S15_S14_S1B_S1C_NSS_IJLi18EEEENSS_IJLi19ELi20EEEENSS_IJLi21EEEEEEENSS_IJLi18ELi19ELi20ELi21EEEElEENSB_INS5_IJSQ_SO_SO_SQ_SG_SG_S26_S28_EEENS5_IJST_SU_SV_SX_SW_SY_S18_SZ_EEENS5_IJS1I_SW_SX_S1J_S18_NSS_IJLi8EEEENSS_IJLi9ELi10EEEES12_EEENSS_IJLi8ELi9ELi10ELi11EEEElEENS5_IJNSB_INS5_IJSK_SO_SO_NSP_INS5_IJiNS23_IiLi2EEENS23_IiLi64EEEEEELb0EEES2T_EEENS5_IJST_SU_SV_SW_SX_EEENS5_IJS1I_SW_SX_NSS_IJLi5ELi6ELi7EEEENSS_IJLi8ELi9ELi10EEEEEEENSS_IJLi5ELi6ELi7ELi8ELi9ELi10EEEElEEEEES30_NS_31BlockToCTileMap_M00_N00_M01_N01ILi128ELi128ES1R_Lb0EEENS1_30ComputePtrOffsetOfStridedBatchILi1ELi1ELi1EvEELb0ELb0EEEvPKT0_S38_T1_PT2_T3_T4_T5_iT6_T7_T8_T9_T10_T11_.has_indirect_call, 0
	.section	.AMDGPU.csdata,"",@progbits
; Kernel info:
; codeLenInByte = 14324
; TotalNumSgprs: 55
; NumVgprs: 149
; ScratchSize: 0
; MemoryBound: 0
; FloatMode: 240
; IeeeMode: 1
; LDSByteSize: 32768 bytes/workgroup (compile time only)
; SGPRBlocks: 0
; VGPRBlocks: 21
; NumSGPRsForWavesPerEU: 55
; NumVGPRsForWavesPerEU: 169
; Occupancy: 8
; WaveLimiterHint : 0
; COMPUTE_PGM_RSRC2:SCRATCH_EN: 0
; COMPUTE_PGM_RSRC2:USER_SGPR: 2
; COMPUTE_PGM_RSRC2:TRAP_HANDLER: 0
; COMPUTE_PGM_RSRC2:TGID_X_EN: 1
; COMPUTE_PGM_RSRC2:TGID_Y_EN: 0
; COMPUTE_PGM_RSRC2:TGID_Z_EN: 0
; COMPUTE_PGM_RSRC2:TIDIG_COMP_CNT: 0
	.section	.text._ZN2ck16tensor_operation6device12_GLOBAL__N_137kernel_grouped_conv_fwd_dl_multiple_dINS_32GridwiseGemmDlMultipleD_km_kn_mnILi256EaiNS_5TupleIJaEEEaNS0_12element_wise11PassThroughES8_NS7_7AddReluELNS_25InMemoryDataOperationEnumE0ENS_16TensorDescriptorINS5_IJNS_5EmbedINS5_IJiiiiEEESD_Lb0EEENS_11PassThroughIiEENS_3PadIiiiLb0EEESI_SG_SG_NSC_INS5_IJiiEEESJ_Lb0EEESK_SG_NS_23Merge_v2_magic_divisionINS5_IJiiiEEEEESN_NS_8RightPadIiiLb0EEESP_NS_7UnMergeISJ_Lb0EEESG_EEENS5_IJNS_8SequenceIJLi0EEEENST_IJLi1EEEENST_IJLi2EEEENST_IJLi3EEEENST_IJLi4EEEENST_IJLi5EEEENST_IJLi6EEEENST_IJLi7EEEENST_IJLi8EEEENST_IJLi9ELi11ELi13EEEENST_IJLi10ELi12ELi14EEEENST_IJLi15EEEENST_IJLi16EEEENST_IJLi18EEEENST_IJLi17EEEEEEENS5_IJNST_IJLi1ELi2ELi3ELi4EEEESZ_S10_S11_S12_NST_IJLi9EEEENST_IJLi10ELi11EEEENST_IJLi12ELi13EEEENST_IJLi14EEEES15_S16_S18_S17_NST_IJLi19ELi20EEEENST_IJLi21EEEEEEENST_IJLi19ELi21ELi20EEEElEENSB_INS5_IJSR_SP_SP_SR_SG_EEENS5_IJSU_SV_SW_SY_SX_EEENS5_IJNST_IJLi1ELi2EEEESX_SY_NST_IJLi5ELi6EEEES11_EEENST_IJLi5ELi7ELi6EEEElEENSB_INS5_IJSK_SP_SP_EEENS5_IJSU_SV_SW_EEENS5_IJS1M_SX_SY_EEENST_IJLi3ELi4EEEElEELi128ELi128ELi16ELi4ELi4ELi4ELi1ENST_IJLi8ELi2EEEES1W_NST_IJLi8ELi1ELi1ELi4EEEENST_IJLi2ELi1ELi128ELi1EEEENST_IJLi1ELi2ELi0ELi3EEEES1Z_NST_IJLi4ELi1ELi1ELi4EEEES1Z_NST_IJLi1ELi1ELi1ELi4EEEES1X_S1Y_S1Z_S1Z_S20_S1Z_S21_NST_IJLi0ELi1ELi2ELi3ELi4ELi5EEEELi5ELi4EEEaNS5_IJPKaEEEaS8_S8_S9_NSB_INS5_IJSE_SG_SI_SI_SG_SG_SK_SK_SG_SN_SN_SP_SP_SR_SG_SG_NSQ_INS5_IJiNS_17integral_constantIiLi128EEEEEELb0EEENSF_INS27_IiLi4EEEEEEEENS5_IJSU_SV_SW_SX_SY_SZ_S10_S11_S12_S13_S14_S15_S16_S17_S18_NST_IJLi19EEEES1G_NST_IJLi20EEEEEEENS5_IJS1A_SZ_S10_S11_S12_S1B_S1C_S1D_S1E_S15_S16_S18_S17_S1F_S1G_NST_IJLi22EEEENST_IJLi23ELi24EEEENST_IJLi25EEEEEEENST_IJLi22ELi23ELi24ELi25EEEElEENSB_INS5_IJSR_SP_SP_SR_SG_SG_S2A_S2C_EEENS5_IJSU_SV_SW_SY_SX_SZ_S11_S10_EEENS5_IJS1M_SX_SY_S1N_S11_S12_NST_IJLi9ELi10EEEENST_IJLi11EEEEEEENST_IJLi8ELi9ELi10ELi11EEEElEENS5_IJNSB_INS5_IJSK_SP_SP_NSQ_INS5_IJiNS27_IiLi2EEENS27_IiLi64EEEEEELb0EEES2X_EEENS5_IJSU_SV_SW_SX_SY_EEENS5_IJS1M_SX_SY_NST_IJLi5ELi6ELi7EEEENST_IJLi8ELi9ELi10EEEEEEENST_IJLi5ELi6ELi7ELi8ELi9ELi10EEEElEEEEES34_NS_31BlockToCTileMap_M00_N00_M01_N01ILi128ELi128ES1V_Lb0EEENS1_30ComputePtrOffsetOfStridedBatchILi1ELi1ELi1EvEELb1ELb1EEEvPKT0_S3C_T1_PT2_T3_T4_T5_iT6_T7_T8_T9_T10_T11_,"axG",@progbits,_ZN2ck16tensor_operation6device12_GLOBAL__N_137kernel_grouped_conv_fwd_dl_multiple_dINS_32GridwiseGemmDlMultipleD_km_kn_mnILi256EaiNS_5TupleIJaEEEaNS0_12element_wise11PassThroughES8_NS7_7AddReluELNS_25InMemoryDataOperationEnumE0ENS_16TensorDescriptorINS5_IJNS_5EmbedINS5_IJiiiiEEESD_Lb0EEENS_11PassThroughIiEENS_3PadIiiiLb0EEESI_SG_SG_NSC_INS5_IJiiEEESJ_Lb0EEESK_SG_NS_23Merge_v2_magic_divisionINS5_IJiiiEEEEESN_NS_8RightPadIiiLb0EEESP_NS_7UnMergeISJ_Lb0EEESG_EEENS5_IJNS_8SequenceIJLi0EEEENST_IJLi1EEEENST_IJLi2EEEENST_IJLi3EEEENST_IJLi4EEEENST_IJLi5EEEENST_IJLi6EEEENST_IJLi7EEEENST_IJLi8EEEENST_IJLi9ELi11ELi13EEEENST_IJLi10ELi12ELi14EEEENST_IJLi15EEEENST_IJLi16EEEENST_IJLi18EEEENST_IJLi17EEEEEEENS5_IJNST_IJLi1ELi2ELi3ELi4EEEESZ_S10_S11_S12_NST_IJLi9EEEENST_IJLi10ELi11EEEENST_IJLi12ELi13EEEENST_IJLi14EEEES15_S16_S18_S17_NST_IJLi19ELi20EEEENST_IJLi21EEEEEEENST_IJLi19ELi21ELi20EEEElEENSB_INS5_IJSR_SP_SP_SR_SG_EEENS5_IJSU_SV_SW_SY_SX_EEENS5_IJNST_IJLi1ELi2EEEESX_SY_NST_IJLi5ELi6EEEES11_EEENST_IJLi5ELi7ELi6EEEElEENSB_INS5_IJSK_SP_SP_EEENS5_IJSU_SV_SW_EEENS5_IJS1M_SX_SY_EEENST_IJLi3ELi4EEEElEELi128ELi128ELi16ELi4ELi4ELi4ELi1ENST_IJLi8ELi2EEEES1W_NST_IJLi8ELi1ELi1ELi4EEEENST_IJLi2ELi1ELi128ELi1EEEENST_IJLi1ELi2ELi0ELi3EEEES1Z_NST_IJLi4ELi1ELi1ELi4EEEES1Z_NST_IJLi1ELi1ELi1ELi4EEEES1X_S1Y_S1Z_S1Z_S20_S1Z_S21_NST_IJLi0ELi1ELi2ELi3ELi4ELi5EEEELi5ELi4EEEaNS5_IJPKaEEEaS8_S8_S9_NSB_INS5_IJSE_SG_SI_SI_SG_SG_SK_SK_SG_SN_SN_SP_SP_SR_SG_SG_NSQ_INS5_IJiNS_17integral_constantIiLi128EEEEEELb0EEENSF_INS27_IiLi4EEEEEEEENS5_IJSU_SV_SW_SX_SY_SZ_S10_S11_S12_S13_S14_S15_S16_S17_S18_NST_IJLi19EEEES1G_NST_IJLi20EEEEEEENS5_IJS1A_SZ_S10_S11_S12_S1B_S1C_S1D_S1E_S15_S16_S18_S17_S1F_S1G_NST_IJLi22EEEENST_IJLi23ELi24EEEENST_IJLi25EEEEEEENST_IJLi22ELi23ELi24ELi25EEEElEENSB_INS5_IJSR_SP_SP_SR_SG_SG_S2A_S2C_EEENS5_IJSU_SV_SW_SY_SX_SZ_S11_S10_EEENS5_IJS1M_SX_SY_S1N_S11_S12_NST_IJLi9ELi10EEEENST_IJLi11EEEEEEENST_IJLi8ELi9ELi10ELi11EEEElEENS5_IJNSB_INS5_IJSK_SP_SP_NSQ_INS5_IJiNS27_IiLi2EEENS27_IiLi64EEEEEELb0EEES2X_EEENS5_IJSU_SV_SW_SX_SY_EEENS5_IJS1M_SX_SY_NST_IJLi5ELi6ELi7EEEENST_IJLi8ELi9ELi10EEEEEEENST_IJLi5ELi6ELi7ELi8ELi9ELi10EEEElEEEEES34_NS_31BlockToCTileMap_M00_N00_M01_N01ILi128ELi128ES1V_Lb0EEENS1_30ComputePtrOffsetOfStridedBatchILi1ELi1ELi1EvEELb1ELb1EEEvPKT0_S3C_T1_PT2_T3_T4_T5_iT6_T7_T8_T9_T10_T11_,comdat
	.globl	_ZN2ck16tensor_operation6device12_GLOBAL__N_137kernel_grouped_conv_fwd_dl_multiple_dINS_32GridwiseGemmDlMultipleD_km_kn_mnILi256EaiNS_5TupleIJaEEEaNS0_12element_wise11PassThroughES8_NS7_7AddReluELNS_25InMemoryDataOperationEnumE0ENS_16TensorDescriptorINS5_IJNS_5EmbedINS5_IJiiiiEEESD_Lb0EEENS_11PassThroughIiEENS_3PadIiiiLb0EEESI_SG_SG_NSC_INS5_IJiiEEESJ_Lb0EEESK_SG_NS_23Merge_v2_magic_divisionINS5_IJiiiEEEEESN_NS_8RightPadIiiLb0EEESP_NS_7UnMergeISJ_Lb0EEESG_EEENS5_IJNS_8SequenceIJLi0EEEENST_IJLi1EEEENST_IJLi2EEEENST_IJLi3EEEENST_IJLi4EEEENST_IJLi5EEEENST_IJLi6EEEENST_IJLi7EEEENST_IJLi8EEEENST_IJLi9ELi11ELi13EEEENST_IJLi10ELi12ELi14EEEENST_IJLi15EEEENST_IJLi16EEEENST_IJLi18EEEENST_IJLi17EEEEEEENS5_IJNST_IJLi1ELi2ELi3ELi4EEEESZ_S10_S11_S12_NST_IJLi9EEEENST_IJLi10ELi11EEEENST_IJLi12ELi13EEEENST_IJLi14EEEES15_S16_S18_S17_NST_IJLi19ELi20EEEENST_IJLi21EEEEEEENST_IJLi19ELi21ELi20EEEElEENSB_INS5_IJSR_SP_SP_SR_SG_EEENS5_IJSU_SV_SW_SY_SX_EEENS5_IJNST_IJLi1ELi2EEEESX_SY_NST_IJLi5ELi6EEEES11_EEENST_IJLi5ELi7ELi6EEEElEENSB_INS5_IJSK_SP_SP_EEENS5_IJSU_SV_SW_EEENS5_IJS1M_SX_SY_EEENST_IJLi3ELi4EEEElEELi128ELi128ELi16ELi4ELi4ELi4ELi1ENST_IJLi8ELi2EEEES1W_NST_IJLi8ELi1ELi1ELi4EEEENST_IJLi2ELi1ELi128ELi1EEEENST_IJLi1ELi2ELi0ELi3EEEES1Z_NST_IJLi4ELi1ELi1ELi4EEEES1Z_NST_IJLi1ELi1ELi1ELi4EEEES1X_S1Y_S1Z_S1Z_S20_S1Z_S21_NST_IJLi0ELi1ELi2ELi3ELi4ELi5EEEELi5ELi4EEEaNS5_IJPKaEEEaS8_S8_S9_NSB_INS5_IJSE_SG_SI_SI_SG_SG_SK_SK_SG_SN_SN_SP_SP_SR_SG_SG_NSQ_INS5_IJiNS_17integral_constantIiLi128EEEEEELb0EEENSF_INS27_IiLi4EEEEEEEENS5_IJSU_SV_SW_SX_SY_SZ_S10_S11_S12_S13_S14_S15_S16_S17_S18_NST_IJLi19EEEES1G_NST_IJLi20EEEEEEENS5_IJS1A_SZ_S10_S11_S12_S1B_S1C_S1D_S1E_S15_S16_S18_S17_S1F_S1G_NST_IJLi22EEEENST_IJLi23ELi24EEEENST_IJLi25EEEEEEENST_IJLi22ELi23ELi24ELi25EEEElEENSB_INS5_IJSR_SP_SP_SR_SG_SG_S2A_S2C_EEENS5_IJSU_SV_SW_SY_SX_SZ_S11_S10_EEENS5_IJS1M_SX_SY_S1N_S11_S12_NST_IJLi9ELi10EEEENST_IJLi11EEEEEEENST_IJLi8ELi9ELi10ELi11EEEElEENS5_IJNSB_INS5_IJSK_SP_SP_NSQ_INS5_IJiNS27_IiLi2EEENS27_IiLi64EEEEEELb0EEES2X_EEENS5_IJSU_SV_SW_SX_SY_EEENS5_IJS1M_SX_SY_NST_IJLi5ELi6ELi7EEEENST_IJLi8ELi9ELi10EEEEEEENST_IJLi5ELi6ELi7ELi8ELi9ELi10EEEElEEEEES34_NS_31BlockToCTileMap_M00_N00_M01_N01ILi128ELi128ES1V_Lb0EEENS1_30ComputePtrOffsetOfStridedBatchILi1ELi1ELi1EvEELb1ELb1EEEvPKT0_S3C_T1_PT2_T3_T4_T5_iT6_T7_T8_T9_T10_T11_ ; -- Begin function _ZN2ck16tensor_operation6device12_GLOBAL__N_137kernel_grouped_conv_fwd_dl_multiple_dINS_32GridwiseGemmDlMultipleD_km_kn_mnILi256EaiNS_5TupleIJaEEEaNS0_12element_wise11PassThroughES8_NS7_7AddReluELNS_25InMemoryDataOperationEnumE0ENS_16TensorDescriptorINS5_IJNS_5EmbedINS5_IJiiiiEEESD_Lb0EEENS_11PassThroughIiEENS_3PadIiiiLb0EEESI_SG_SG_NSC_INS5_IJiiEEESJ_Lb0EEESK_SG_NS_23Merge_v2_magic_divisionINS5_IJiiiEEEEESN_NS_8RightPadIiiLb0EEESP_NS_7UnMergeISJ_Lb0EEESG_EEENS5_IJNS_8SequenceIJLi0EEEENST_IJLi1EEEENST_IJLi2EEEENST_IJLi3EEEENST_IJLi4EEEENST_IJLi5EEEENST_IJLi6EEEENST_IJLi7EEEENST_IJLi8EEEENST_IJLi9ELi11ELi13EEEENST_IJLi10ELi12ELi14EEEENST_IJLi15EEEENST_IJLi16EEEENST_IJLi18EEEENST_IJLi17EEEEEEENS5_IJNST_IJLi1ELi2ELi3ELi4EEEESZ_S10_S11_S12_NST_IJLi9EEEENST_IJLi10ELi11EEEENST_IJLi12ELi13EEEENST_IJLi14EEEES15_S16_S18_S17_NST_IJLi19ELi20EEEENST_IJLi21EEEEEEENST_IJLi19ELi21ELi20EEEElEENSB_INS5_IJSR_SP_SP_SR_SG_EEENS5_IJSU_SV_SW_SY_SX_EEENS5_IJNST_IJLi1ELi2EEEESX_SY_NST_IJLi5ELi6EEEES11_EEENST_IJLi5ELi7ELi6EEEElEENSB_INS5_IJSK_SP_SP_EEENS5_IJSU_SV_SW_EEENS5_IJS1M_SX_SY_EEENST_IJLi3ELi4EEEElEELi128ELi128ELi16ELi4ELi4ELi4ELi1ENST_IJLi8ELi2EEEES1W_NST_IJLi8ELi1ELi1ELi4EEEENST_IJLi2ELi1ELi128ELi1EEEENST_IJLi1ELi2ELi0ELi3EEEES1Z_NST_IJLi4ELi1ELi1ELi4EEEES1Z_NST_IJLi1ELi1ELi1ELi4EEEES1X_S1Y_S1Z_S1Z_S20_S1Z_S21_NST_IJLi0ELi1ELi2ELi3ELi4ELi5EEEELi5ELi4EEEaNS5_IJPKaEEEaS8_S8_S9_NSB_INS5_IJSE_SG_SI_SI_SG_SG_SK_SK_SG_SN_SN_SP_SP_SR_SG_SG_NSQ_INS5_IJiNS_17integral_constantIiLi128EEEEEELb0EEENSF_INS27_IiLi4EEEEEEEENS5_IJSU_SV_SW_SX_SY_SZ_S10_S11_S12_S13_S14_S15_S16_S17_S18_NST_IJLi19EEEES1G_NST_IJLi20EEEEEEENS5_IJS1A_SZ_S10_S11_S12_S1B_S1C_S1D_S1E_S15_S16_S18_S17_S1F_S1G_NST_IJLi22EEEENST_IJLi23ELi24EEEENST_IJLi25EEEEEEENST_IJLi22ELi23ELi24ELi25EEEElEENSB_INS5_IJSR_SP_SP_SR_SG_SG_S2A_S2C_EEENS5_IJSU_SV_SW_SY_SX_SZ_S11_S10_EEENS5_IJS1M_SX_SY_S1N_S11_S12_NST_IJLi9ELi10EEEENST_IJLi11EEEEEEENST_IJLi8ELi9ELi10ELi11EEEElEENS5_IJNSB_INS5_IJSK_SP_SP_NSQ_INS5_IJiNS27_IiLi2EEENS27_IiLi64EEEEEELb0EEES2X_EEENS5_IJSU_SV_SW_SX_SY_EEENS5_IJS1M_SX_SY_NST_IJLi5ELi6ELi7EEEENST_IJLi8ELi9ELi10EEEEEEENST_IJLi5ELi6ELi7ELi8ELi9ELi10EEEElEEEEES34_NS_31BlockToCTileMap_M00_N00_M01_N01ILi128ELi128ES1V_Lb0EEENS1_30ComputePtrOffsetOfStridedBatchILi1ELi1ELi1EvEELb1ELb1EEEvPKT0_S3C_T1_PT2_T3_T4_T5_iT6_T7_T8_T9_T10_T11_
	.p2align	8
	.type	_ZN2ck16tensor_operation6device12_GLOBAL__N_137kernel_grouped_conv_fwd_dl_multiple_dINS_32GridwiseGemmDlMultipleD_km_kn_mnILi256EaiNS_5TupleIJaEEEaNS0_12element_wise11PassThroughES8_NS7_7AddReluELNS_25InMemoryDataOperationEnumE0ENS_16TensorDescriptorINS5_IJNS_5EmbedINS5_IJiiiiEEESD_Lb0EEENS_11PassThroughIiEENS_3PadIiiiLb0EEESI_SG_SG_NSC_INS5_IJiiEEESJ_Lb0EEESK_SG_NS_23Merge_v2_magic_divisionINS5_IJiiiEEEEESN_NS_8RightPadIiiLb0EEESP_NS_7UnMergeISJ_Lb0EEESG_EEENS5_IJNS_8SequenceIJLi0EEEENST_IJLi1EEEENST_IJLi2EEEENST_IJLi3EEEENST_IJLi4EEEENST_IJLi5EEEENST_IJLi6EEEENST_IJLi7EEEENST_IJLi8EEEENST_IJLi9ELi11ELi13EEEENST_IJLi10ELi12ELi14EEEENST_IJLi15EEEENST_IJLi16EEEENST_IJLi18EEEENST_IJLi17EEEEEEENS5_IJNST_IJLi1ELi2ELi3ELi4EEEESZ_S10_S11_S12_NST_IJLi9EEEENST_IJLi10ELi11EEEENST_IJLi12ELi13EEEENST_IJLi14EEEES15_S16_S18_S17_NST_IJLi19ELi20EEEENST_IJLi21EEEEEEENST_IJLi19ELi21ELi20EEEElEENSB_INS5_IJSR_SP_SP_SR_SG_EEENS5_IJSU_SV_SW_SY_SX_EEENS5_IJNST_IJLi1ELi2EEEESX_SY_NST_IJLi5ELi6EEEES11_EEENST_IJLi5ELi7ELi6EEEElEENSB_INS5_IJSK_SP_SP_EEENS5_IJSU_SV_SW_EEENS5_IJS1M_SX_SY_EEENST_IJLi3ELi4EEEElEELi128ELi128ELi16ELi4ELi4ELi4ELi1ENST_IJLi8ELi2EEEES1W_NST_IJLi8ELi1ELi1ELi4EEEENST_IJLi2ELi1ELi128ELi1EEEENST_IJLi1ELi2ELi0ELi3EEEES1Z_NST_IJLi4ELi1ELi1ELi4EEEES1Z_NST_IJLi1ELi1ELi1ELi4EEEES1X_S1Y_S1Z_S1Z_S20_S1Z_S21_NST_IJLi0ELi1ELi2ELi3ELi4ELi5EEEELi5ELi4EEEaNS5_IJPKaEEEaS8_S8_S9_NSB_INS5_IJSE_SG_SI_SI_SG_SG_SK_SK_SG_SN_SN_SP_SP_SR_SG_SG_NSQ_INS5_IJiNS_17integral_constantIiLi128EEEEEELb0EEENSF_INS27_IiLi4EEEEEEEENS5_IJSU_SV_SW_SX_SY_SZ_S10_S11_S12_S13_S14_S15_S16_S17_S18_NST_IJLi19EEEES1G_NST_IJLi20EEEEEEENS5_IJS1A_SZ_S10_S11_S12_S1B_S1C_S1D_S1E_S15_S16_S18_S17_S1F_S1G_NST_IJLi22EEEENST_IJLi23ELi24EEEENST_IJLi25EEEEEEENST_IJLi22ELi23ELi24ELi25EEEElEENSB_INS5_IJSR_SP_SP_SR_SG_SG_S2A_S2C_EEENS5_IJSU_SV_SW_SY_SX_SZ_S11_S10_EEENS5_IJS1M_SX_SY_S1N_S11_S12_NST_IJLi9ELi10EEEENST_IJLi11EEEEEEENST_IJLi8ELi9ELi10ELi11EEEElEENS5_IJNSB_INS5_IJSK_SP_SP_NSQ_INS5_IJiNS27_IiLi2EEENS27_IiLi64EEEEEELb0EEES2X_EEENS5_IJSU_SV_SW_SX_SY_EEENS5_IJS1M_SX_SY_NST_IJLi5ELi6ELi7EEEENST_IJLi8ELi9ELi10EEEEEEENST_IJLi5ELi6ELi7ELi8ELi9ELi10EEEElEEEEES34_NS_31BlockToCTileMap_M00_N00_M01_N01ILi128ELi128ES1V_Lb0EEENS1_30ComputePtrOffsetOfStridedBatchILi1ELi1ELi1EvEELb1ELb1EEEvPKT0_S3C_T1_PT2_T3_T4_T5_iT6_T7_T8_T9_T10_T11_,@function
_ZN2ck16tensor_operation6device12_GLOBAL__N_137kernel_grouped_conv_fwd_dl_multiple_dINS_32GridwiseGemmDlMultipleD_km_kn_mnILi256EaiNS_5TupleIJaEEEaNS0_12element_wise11PassThroughES8_NS7_7AddReluELNS_25InMemoryDataOperationEnumE0ENS_16TensorDescriptorINS5_IJNS_5EmbedINS5_IJiiiiEEESD_Lb0EEENS_11PassThroughIiEENS_3PadIiiiLb0EEESI_SG_SG_NSC_INS5_IJiiEEESJ_Lb0EEESK_SG_NS_23Merge_v2_magic_divisionINS5_IJiiiEEEEESN_NS_8RightPadIiiLb0EEESP_NS_7UnMergeISJ_Lb0EEESG_EEENS5_IJNS_8SequenceIJLi0EEEENST_IJLi1EEEENST_IJLi2EEEENST_IJLi3EEEENST_IJLi4EEEENST_IJLi5EEEENST_IJLi6EEEENST_IJLi7EEEENST_IJLi8EEEENST_IJLi9ELi11ELi13EEEENST_IJLi10ELi12ELi14EEEENST_IJLi15EEEENST_IJLi16EEEENST_IJLi18EEEENST_IJLi17EEEEEEENS5_IJNST_IJLi1ELi2ELi3ELi4EEEESZ_S10_S11_S12_NST_IJLi9EEEENST_IJLi10ELi11EEEENST_IJLi12ELi13EEEENST_IJLi14EEEES15_S16_S18_S17_NST_IJLi19ELi20EEEENST_IJLi21EEEEEEENST_IJLi19ELi21ELi20EEEElEENSB_INS5_IJSR_SP_SP_SR_SG_EEENS5_IJSU_SV_SW_SY_SX_EEENS5_IJNST_IJLi1ELi2EEEESX_SY_NST_IJLi5ELi6EEEES11_EEENST_IJLi5ELi7ELi6EEEElEENSB_INS5_IJSK_SP_SP_EEENS5_IJSU_SV_SW_EEENS5_IJS1M_SX_SY_EEENST_IJLi3ELi4EEEElEELi128ELi128ELi16ELi4ELi4ELi4ELi1ENST_IJLi8ELi2EEEES1W_NST_IJLi8ELi1ELi1ELi4EEEENST_IJLi2ELi1ELi128ELi1EEEENST_IJLi1ELi2ELi0ELi3EEEES1Z_NST_IJLi4ELi1ELi1ELi4EEEES1Z_NST_IJLi1ELi1ELi1ELi4EEEES1X_S1Y_S1Z_S1Z_S20_S1Z_S21_NST_IJLi0ELi1ELi2ELi3ELi4ELi5EEEELi5ELi4EEEaNS5_IJPKaEEEaS8_S8_S9_NSB_INS5_IJSE_SG_SI_SI_SG_SG_SK_SK_SG_SN_SN_SP_SP_SR_SG_SG_NSQ_INS5_IJiNS_17integral_constantIiLi128EEEEEELb0EEENSF_INS27_IiLi4EEEEEEEENS5_IJSU_SV_SW_SX_SY_SZ_S10_S11_S12_S13_S14_S15_S16_S17_S18_NST_IJLi19EEEES1G_NST_IJLi20EEEEEEENS5_IJS1A_SZ_S10_S11_S12_S1B_S1C_S1D_S1E_S15_S16_S18_S17_S1F_S1G_NST_IJLi22EEEENST_IJLi23ELi24EEEENST_IJLi25EEEEEEENST_IJLi22ELi23ELi24ELi25EEEElEENSB_INS5_IJSR_SP_SP_SR_SG_SG_S2A_S2C_EEENS5_IJSU_SV_SW_SY_SX_SZ_S11_S10_EEENS5_IJS1M_SX_SY_S1N_S11_S12_NST_IJLi9ELi10EEEENST_IJLi11EEEEEEENST_IJLi8ELi9ELi10ELi11EEEElEENS5_IJNSB_INS5_IJSK_SP_SP_NSQ_INS5_IJiNS27_IiLi2EEENS27_IiLi64EEEEEELb0EEES2X_EEENS5_IJSU_SV_SW_SX_SY_EEENS5_IJS1M_SX_SY_NST_IJLi5ELi6ELi7EEEENST_IJLi8ELi9ELi10EEEEEEENST_IJLi5ELi6ELi7ELi8ELi9ELi10EEEElEEEEES34_NS_31BlockToCTileMap_M00_N00_M01_N01ILi128ELi128ES1V_Lb0EEENS1_30ComputePtrOffsetOfStridedBatchILi1ELi1ELi1EvEELb1ELb1EEEvPKT0_S3C_T1_PT2_T3_T4_T5_iT6_T7_T8_T9_T10_T11_: ; @_ZN2ck16tensor_operation6device12_GLOBAL__N_137kernel_grouped_conv_fwd_dl_multiple_dINS_32GridwiseGemmDlMultipleD_km_kn_mnILi256EaiNS_5TupleIJaEEEaNS0_12element_wise11PassThroughES8_NS7_7AddReluELNS_25InMemoryDataOperationEnumE0ENS_16TensorDescriptorINS5_IJNS_5EmbedINS5_IJiiiiEEESD_Lb0EEENS_11PassThroughIiEENS_3PadIiiiLb0EEESI_SG_SG_NSC_INS5_IJiiEEESJ_Lb0EEESK_SG_NS_23Merge_v2_magic_divisionINS5_IJiiiEEEEESN_NS_8RightPadIiiLb0EEESP_NS_7UnMergeISJ_Lb0EEESG_EEENS5_IJNS_8SequenceIJLi0EEEENST_IJLi1EEEENST_IJLi2EEEENST_IJLi3EEEENST_IJLi4EEEENST_IJLi5EEEENST_IJLi6EEEENST_IJLi7EEEENST_IJLi8EEEENST_IJLi9ELi11ELi13EEEENST_IJLi10ELi12ELi14EEEENST_IJLi15EEEENST_IJLi16EEEENST_IJLi18EEEENST_IJLi17EEEEEEENS5_IJNST_IJLi1ELi2ELi3ELi4EEEESZ_S10_S11_S12_NST_IJLi9EEEENST_IJLi10ELi11EEEENST_IJLi12ELi13EEEENST_IJLi14EEEES15_S16_S18_S17_NST_IJLi19ELi20EEEENST_IJLi21EEEEEEENST_IJLi19ELi21ELi20EEEElEENSB_INS5_IJSR_SP_SP_SR_SG_EEENS5_IJSU_SV_SW_SY_SX_EEENS5_IJNST_IJLi1ELi2EEEESX_SY_NST_IJLi5ELi6EEEES11_EEENST_IJLi5ELi7ELi6EEEElEENSB_INS5_IJSK_SP_SP_EEENS5_IJSU_SV_SW_EEENS5_IJS1M_SX_SY_EEENST_IJLi3ELi4EEEElEELi128ELi128ELi16ELi4ELi4ELi4ELi1ENST_IJLi8ELi2EEEES1W_NST_IJLi8ELi1ELi1ELi4EEEENST_IJLi2ELi1ELi128ELi1EEEENST_IJLi1ELi2ELi0ELi3EEEES1Z_NST_IJLi4ELi1ELi1ELi4EEEES1Z_NST_IJLi1ELi1ELi1ELi4EEEES1X_S1Y_S1Z_S1Z_S20_S1Z_S21_NST_IJLi0ELi1ELi2ELi3ELi4ELi5EEEELi5ELi4EEEaNS5_IJPKaEEEaS8_S8_S9_NSB_INS5_IJSE_SG_SI_SI_SG_SG_SK_SK_SG_SN_SN_SP_SP_SR_SG_SG_NSQ_INS5_IJiNS_17integral_constantIiLi128EEEEEELb0EEENSF_INS27_IiLi4EEEEEEEENS5_IJSU_SV_SW_SX_SY_SZ_S10_S11_S12_S13_S14_S15_S16_S17_S18_NST_IJLi19EEEES1G_NST_IJLi20EEEEEEENS5_IJS1A_SZ_S10_S11_S12_S1B_S1C_S1D_S1E_S15_S16_S18_S17_S1F_S1G_NST_IJLi22EEEENST_IJLi23ELi24EEEENST_IJLi25EEEEEEENST_IJLi22ELi23ELi24ELi25EEEElEENSB_INS5_IJSR_SP_SP_SR_SG_SG_S2A_S2C_EEENS5_IJSU_SV_SW_SY_SX_SZ_S11_S10_EEENS5_IJS1M_SX_SY_S1N_S11_S12_NST_IJLi9ELi10EEEENST_IJLi11EEEEEEENST_IJLi8ELi9ELi10ELi11EEEElEENS5_IJNSB_INS5_IJSK_SP_SP_NSQ_INS5_IJiNS27_IiLi2EEENS27_IiLi64EEEEEELb0EEES2X_EEENS5_IJSU_SV_SW_SX_SY_EEENS5_IJS1M_SX_SY_NST_IJLi5ELi6ELi7EEEENST_IJLi8ELi9ELi10EEEEEEENST_IJLi5ELi6ELi7ELi8ELi9ELi10EEEElEEEEES34_NS_31BlockToCTileMap_M00_N00_M01_N01ILi128ELi128ES1V_Lb0EEENS1_30ComputePtrOffsetOfStridedBatchILi1ELi1ELi1EvEELb1ELb1EEEvPKT0_S3C_T1_PT2_T3_T4_T5_iT6_T7_T8_T9_T10_T11_
; %bb.0:
	s_clause 0x3
	s_load_b32 s2, s[0:1], 0x24
	s_load_b128 s[28:31], s[0:1], 0x38
	s_load_b128 s[16:19], s[0:1], 0x274
	;; [unrolled: 1-line block ×3, first 2 shown]
	v_lshrrev_b32_e32 v21, 1, v0
	s_mov_b32 s39, 0x31004000
	v_lshrrev_b32_e32 v22, 5, v0
	v_mov_b32_e32 v75, 0
	v_mov_b32_e32 v77, 0
	v_dual_mov_b32 v59, 0 :: v_dual_mov_b32 v66, 0
	s_delay_alu instid0(VALU_DEP_4)
	v_lshlrev_b32_e32 v24, 6, v22
	v_dual_mov_b32 v61, 0 :: v_dual_lshlrev_b32 v22, 3, v22
	v_dual_mov_b32 v58, 0 :: v_dual_mov_b32 v51, 0
	v_dual_mov_b32 v60, 0 :: v_dual_mov_b32 v55, 0
	;; [unrolled: 1-line block ×3, first 2 shown]
	v_mov_b32_e32 v68, 0
	s_wait_kmcnt 0x0
	s_abs_i32 s3, s2
	v_dual_mov_b32 v67, 0 :: v_dual_mov_b32 v70, 0
	s_cvt_f32_u32 s4, s3
	s_sub_co_i32 s6, 0, s3
	v_dual_mov_b32 v63, 0 :: v_dual_mov_b32 v72, 0
	s_delay_alu instid0(SALU_CYCLE_1)
	v_rcp_iflag_f32_e32 v1, s4
	s_clause 0x3
	s_load_b32 s4, s[0:1], 0x2c8
	s_load_b128 s[8:11], s[0:1], 0x0
	s_load_b64 s[54:55], s[0:1], 0x18
	s_load_b64 s[24:25], s[0:1], 0xc8
	v_dual_mov_b32 v69, 0 :: v_dual_mov_b32 v74, 0
	v_dual_mov_b32 v71, 0 :: v_dual_mov_b32 v88, 0
	;; [unrolled: 1-line block ×4, first 2 shown]
	v_readfirstlane_b32 s5, v1
	v_dual_mov_b32 v87, 0 :: v_dual_mov_b32 v82, 0
	v_dual_mov_b32 v89, 0 :: v_dual_mov_b32 v86, 0
	s_mul_f32 s5, s5, 0x4f7ffffe
	v_dual_mov_b32 v81, 0 :: v_dual_mov_b32 v96, 0
	v_dual_mov_b32 v95, 0 :: v_dual_mov_b32 v90, 0
	s_wait_alu 0xfffe
	s_cvt_u32_f32 s5, s5
	s_wait_kmcnt 0x0
	s_abs_i32 s7, s4
	s_xor_b32 s2, s4, s2
	v_dual_mov_b32 v99, 0 :: v_dual_mov_b32 v94, 0
	s_wait_alu 0xfffe
	s_mul_i32 s6, s6, s5
	s_ashr_i32 s2, s2, 31
	s_mul_hi_u32 s6, s5, s6
	v_dual_mov_b32 v101, 0 :: v_dual_mov_b32 v104, 0
	s_add_co_i32 s5, s5, s6
	v_dual_mov_b32 v91, 0 :: v_dual_mov_b32 v106, 0
	s_wait_alu 0xfffe
	s_mul_hi_u32 s5, s7, s5
	v_dual_mov_b32 v93, 0 :: v_dual_mov_b32 v98, 0
	s_wait_alu 0xfffe
	s_mul_i32 s4, s5, s3
	s_add_co_i32 s6, s5, 1
	s_wait_alu 0xfffe
	s_sub_co_i32 s4, s7, s4
	v_dual_mov_b32 v103, 0 :: v_dual_mov_b32 v100, 0
	s_wait_alu 0xfffe
	s_sub_co_i32 s7, s4, s3
	s_cmp_ge_u32 s4, s3
	v_dual_mov_b32 v105, 0 :: v_dual_mov_b32 v102, 0
	s_cselect_b32 s5, s6, s5
	s_cselect_b32 s4, s7, s4
	s_wait_alu 0xfffe
	s_add_co_i32 s6, s5, 1
	s_cmp_ge_u32 s4, s3
	v_dual_mov_b32 v97, 0 :: v_dual_mov_b32 v108, 0
	s_cselect_b32 s3, s6, s5
	s_abs_i32 s20, ttmp9
	s_xor_b32 s3, s3, s2
	v_dual_mov_b32 v107, 0 :: v_dual_mov_b32 v110, 0
	s_sub_co_i32 s3, s3, s2
	v_dual_mov_b32 v109, 0 :: v_dual_mov_b32 v84, 0
	s_abs_i32 s4, s3
	s_xor_b32 s3, ttmp9, s3
	s_wait_alu 0xfffe
	s_cvt_f32_u32 s2, s4
	s_sub_co_i32 s7, 0, s4
	s_ashr_i32 s3, s3, 31
	v_mov_b32_e32 v48, 0
	v_rcp_iflag_f32_e32 v1, s2
	v_dual_mov_b32 v83, 0 :: v_dual_mov_b32 v76, 0
	v_dual_mov_b32 v50, 0 :: v_dual_mov_b32 v85, 0
	v_mov_b32_e32 v78, 0
	s_mov_b32 s70, 0
	s_mov_b32 s43, s39
	v_dual_mov_b32 v56, 0 :: v_dual_mov_b32 v53, 0
	s_delay_alu instid0(TRANS32_DEP_1) | instskip(SKIP_3) | instid1(VALU_DEP_2)
	v_readfirstlane_b32 s2, v1
	v_dual_mov_b32 v52, 0 :: v_dual_lshlrev_b32 v1, 3, v0
	v_dual_mov_b32 v47, 0 :: v_dual_mov_b32 v54, 0
	s_mul_f32 s2, s2, 0x4f7ffffe
	v_dual_mov_b32 v64, 0 :: v_dual_and_b32 v31, 8, v1
	v_mov_b32_e32 v49, 0
	s_wait_alu 0xfffe
	s_cvt_u32_f32 s5, s2
	s_clause 0x7
	s_load_b32 s67, s[0:1], 0x100
	s_load_b32 s71, s[0:1], 0x10c
	;; [unrolled: 1-line block ×8, first 2 shown]
	v_or_b32_e32 v1, 4, v31
	v_or_b32_e32 v40, 32, v31
	s_mul_i32 s7, s7, s5
	v_or_b32_e32 v42, 16, v31
	s_mul_hi_u32 s7, s5, s7
	v_or_b32_e32 v41, 20, v31
	s_add_co_i32 s5, s5, s7
	v_mov_b32_e32 v57, 0
	s_wait_alu 0xfffe
	s_mul_hi_u32 s5, s20, s5
	s_wait_alu 0xfffe
	s_mul_i32 s7, s5, s4
	s_delay_alu instid0(SALU_CYCLE_1)
	s_sub_co_i32 s7, s20, s7
	s_add_co_i32 s20, s5, 1
	s_sub_co_i32 s21, s7, s4
	s_cmp_ge_u32 s7, s4
	s_wait_kmcnt 0x0
	v_mul_lo_u32 v26, s67, v31
	s_cselect_b32 s5, s20, s5
	s_cselect_b32 s7, s21, s7
	s_wait_alu 0xfffe
	s_add_co_i32 s20, s5, 1
	s_cmp_ge_u32 s7, s4
	s_mul_hi_u32 s4, s19, ttmp9
	s_cselect_b32 s36, s20, s5
	s_wait_alu 0xfffe
	s_add_co_i32 s4, ttmp9, s4
	s_clause 0x2
	s_load_b32 s7, s[0:1], 0x244
	s_load_b32 s40, s[0:1], 0x254
	s_load_b128 s[20:23], s[0:1], 0x260
	s_lshr_b32 s37, s4, s15
	v_mul_lo_u32 v32, s67, v1
	s_mul_hi_u32 s4, s37, s18
	s_clause 0x2
	s_load_b64 s[56:57], s[0:1], 0xd4
	s_load_b32 s73, s[0:1], 0xe4
	s_load_b32 s65, s[0:1], 0xf0
	s_add_co_i32 s4, s37, s4
	v_mul_hi_u32 v1, v26, s25
	s_wait_alu 0xfffe
	s_lshr_b32 s41, s4, s14
	v_mul_lo_u32 v34, s72, v31
	s_mul_hi_u32 s4, s41, s17
	v_mul_hi_u32 v2, v32, s25
	s_wait_alu 0xfffe
	s_add_co_i32 s4, s41, s4
	v_mul_lo_u32 v36, s72, v40
	s_wait_alu 0xfffe
	s_lshr_b32 s42, s4, s13
	s_clause 0x3
	s_load_b64 s[4:5], s[0:1], 0x94
	s_load_b64 s[26:27], s[0:1], 0xa0
	s_load_b64 s[34:35], s[0:1], 0xac
	s_load_b64 s[58:59], s[0:1], 0xbc
	s_mul_hi_u32 s13, s42, s16
	v_add_nc_u32_e32 v1, v26, v1
	s_add_co_i32 s13, s42, s13
	v_add_nc_u32_e32 v2, v32, v2
	s_lshr_b32 s12, s13, s12
	s_wait_kmcnt 0x0
	s_mul_i32 s13, s41, s22
	s_mul_i32 s12, s12, s20
	s_sub_co_i32 s47, s37, s13
	s_sub_co_i32 s12, s42, s12
	v_lshrrev_b32_e32 v3, s57, v1
	s_mul_i32 s12, s12, s7
	v_lshrrev_b32_e32 v2, s57, v2
	s_add_co_i32 s47, s47, s12
	s_clause 0x1
	s_load_b32 s51, s[0:1], 0x50
	s_load_b96 s[44:46], s[0:1], 0x4c
	v_lshl_or_b32 v28, s47, 7, v21
	v_mul_hi_u32 v1, v3, s24
	v_mul_hi_u32 v4, v2, s24
	s_clause 0x4
	s_load_b32 s64, s[0:1], 0x5c
	s_load_b64 s[60:61], s[0:1], 0x74
	s_load_b64 s[62:63], s[0:1], 0x84
	s_load_b96 s[48:50], s[0:1], 0x58
	s_load_b256 s[12:19], s[0:1], 0x2a0
	v_mul_hi_u32 v5, v28, s27
	v_mul_lo_u32 v7, v2, s59
	v_mul_lo_u32 v6, v3, s59
	s_mul_i32 s42, s42, s21
	v_add_nc_u32_e32 v1, v3, v1
	v_add_nc_u32_e32 v4, v2, v4
	s_mul_i32 s37, s37, s23
	s_sub_co_i32 s20, s41, s42
	v_add_nc_u32_e32 v5, v28, v5
	v_lshrrev_b32_e32 v1, s56, v1
	v_sub_nc_u32_e32 v33, v32, v7
	v_lshrrev_b32_e32 v27, s56, v4
	v_sub_nc_u32_e32 v4, v26, v6
	v_lshrrev_b32_e32 v7, s35, v5
	v_mul_lo_u32 v6, v1, s58
	s_wait_kmcnt 0x0
	s_sub_co_i32 s49, ttmp9, s37
	v_mul_lo_u32 v8, v27, s58
	v_mul_lo_u32 v5, v4, s31
	v_mul_hi_u32 v9, v7, s26
	v_sub_nc_u32_e32 v4, v33, v4
	v_sub_nc_u32_e32 v10, v27, v1
	v_mul_lo_u32 v1, v1, s60
	v_sub_nc_u32_e32 v3, v3, v6
	s_mul_i32 s20, s20, s40
	v_mul_lo_u32 v6, v4, s31
	v_sub_nc_u32_e32 v29, v2, v8
	v_add_nc_u32_e32 v4, v7, v9
	v_mul_lo_u32 v2, v3, s62
	s_add_co_i32 s49, s49, s20
	v_mul_lo_u32 v111, v10, s60
	v_sub_nc_u32_e32 v3, v29, v3
	v_lshrrev_b32_e32 v8, s34, v4
	v_mul_lo_u32 v4, v7, s5
	v_lshl_or_b32 v112, s49, 7, v21
	s_mov_b32 s7, s39
	v_mul_lo_u32 v40, s67, v40
	v_mul_lo_u32 v9, v8, s4
	s_xor_b32 s4, s36, s3
	v_mul_lo_u32 v30, v112, s33
	s_wait_alu 0xfffe
	s_sub_co_i32 s20, s4, s3
	v_sub_nc_u32_e32 v4, v28, v4
	v_mul_lo_u32 v12, v8, s28
	s_ashr_i32 s21, s20, 31
	v_dual_mov_b32 v44, v40 :: v_dual_lshlrev_b32 v23, 1, v0
	v_sub_nc_u32_e32 v7, v7, v9
	v_mad_co_u64_u32 v[17:18], null, v4, s63, v[2:3]
	s_mul_u64 s[4:5], s[14:15], s[20:21]
	v_add_nc_u32_e32 v11, v30, v34
	v_mad_co_u64_u32 v[18:19], null, v7, s61, v[1:2]
	v_mul_lo_u32 v19, v3, s62
	s_wait_alu 0xfffe
	s_add_nc_u64 s[40:41], s[10:11], s[4:5]
	v_subrev_nc_u32_e32 v7, s64, v17
	s_and_b32 s41, s41, 0xffff
	s_mov_b32 s4, s40
	s_mov_b32 s5, s41
	v_subrev_nc_u32_e32 v9, s51, v18
	v_mad_co_u64_u32 v[7:8], null, v7, s30, v[5:6]
	s_lshl_b32 s61, s72, 2
	buffer_load_b128 v[1:4], v11, s[4:7], null offen
	v_mul_lo_u32 v5, v9, s29
	s_mul_u64 s[10:11], s[12:13], s[20:21]
	v_mul_lo_u32 v38, s72, v42
	s_add_nc_u64 s[36:37], s[8:9], s[10:11]
	v_mad_co_u64_u32 v[9:10], null, v111, s29, v[6:7]
	v_mul_lo_u32 v10, v19, s30
	v_add_nc_u32_e32 v6, s61, v11
	v_add3_u32 v11, v7, v12, v5
	s_and_b32 s37, s37, 0xffff
	v_mul_lo_u32 v42, s67, v42
	v_lshlrev_b32_e32 v21, 2, v21
	buffer_load_b128 v[5:8], v6, s[4:7], null offen
	v_and_b32_e32 v35, 0x1f8, v23
	v_add3_u32 v20, v9, v10, v11
	s_clause 0x1
	buffer_load_b128 v[9:12], v11, s[36:39], null offen
	buffer_load_b128 v[13:16], v20, s[36:39], null offen
	s_clause 0x7
	s_load_b64 s[52:53], s[0:1], 0x198
	s_load_b32 s33, s[0:1], 0x1a4
	s_load_b32 s45, s[0:1], 0x1b0
	s_load_b64 s[26:27], s[0:1], 0x1d8
	s_load_b64 s[34:35], s[0:1], 0x1e8
	s_load_b32 s15, s[0:1], 0x1f4
	s_load_b32 s28, s[0:1], 0x200
	s_load_b64 s[22:23], s[0:1], 0x228
	s_wait_kmcnt 0x0
	s_sub_co_i32 s23, s48, s50
	v_cmp_gt_i32_e64 s3, s65, v26
	v_cmp_gt_i32_e64 s7, s23, v17
	v_add_nc_u32_e32 v26, v17, v19
	v_mov_b32_e32 v46, v42
	v_lshl_or_b32 v25, v31, 9, v21
	v_sub_nc_u32_e32 v21, v35, v24
	v_and_or_b32 v24, v23, 4, v22
	v_or_b32_e32 v22, 36, v31
	v_cmp_gt_i32_e64 s4, s65, v32
	s_and_b32 s11, s7, s3
	v_cmp_gt_i32_e64 s3, s23, v26
	v_cmp_gt_i32_e32 vcc_lo, s2, v112
	v_cmp_gt_i32_e64 s2, s73, v28
	v_cmp_le_i32_e64 s7, s64, v26
	v_add_nc_u32_e32 v28, v18, v111
	v_mul_lo_u32 v39, s67, v22
	v_cmp_gt_i32_e64 s5, s66, v34
	v_add_nc_u32_e32 v34, s61, v34
	s_sub_co_i32 s27, s44, s46
	s_and_b32 s3, s3, s4
	v_lshlrev_b32_e32 v0, 2, v0
	v_cmp_le_i32_e64 s8, s64, v17
	v_cmp_le_i32_e64 s9, s51, v18
	s_wait_alu 0xfffe
	v_cmp_gt_i32_e64 s10, s27, v18
	s_and_b32 s7, s3, s7
	v_cmp_le_i32_e64 s3, s51, v28
	v_cmp_gt_i32_e64 s4, s27, v28
	s_mov_b32 s42, s6
	v_mul_lo_u32 v37, s72, v41
	v_mul_lo_u32 v41, s67, v41
	v_cmp_gt_i32_e64 s6, s66, v34
	s_and_b32 s5, s5, vcc_lo
	v_mov_b32_e32 v43, v39
	v_and_or_b32 v23, v0, 4, v21
	s_and_b32 s8, s11, s8
	s_and_b32 s9, s9, s10
	;; [unrolled: 1-line block ×3, first 2 shown]
	v_mul_lo_u32 v35, s72, v22
	s_and_b32 s4, s8, s9
	v_lshlrev_b32_e32 v21, 2, v24
	v_dual_mov_b32 v45, v41 :: v_dual_lshlrev_b32 v22, 2, v23
	s_mov_b32 s63, 0
	s_mul_i32 s68, s67, 12
	s_mul_i32 s69, s72, 12
	s_sub_co_i32 s46, s71, 32
	s_lshl_b32 s44, s67, 2
	s_lshl_b32 s48, s72, 5
	;; [unrolled: 1-line block ×3, first 2 shown]
	s_sub_co_i32 s71, 0, s59
	s_wait_loadcnt 0x3
	s_wait_alu 0xfffe
	v_cndmask_b32_e64 v2, 0, v2, s5
	v_cndmask_b32_e64 v1, 0, v1, s5
	;; [unrolled: 1-line block ×4, first 2 shown]
	s_and_b32 s5, s7, s3
	s_and_b32 s3, s6, vcc_lo
	ds_store_2addr_stride64_b32 v25, v1, v2 offset0:64 offset1:66
	ds_store_2addr_stride64_b32 v25, v3, v0 offset0:68 offset1:70
	s_wait_loadcnt 0x2
	s_wait_alu 0xfffe
	v_cndmask_b32_e64 v0, 0, v8, s3
	v_cndmask_b32_e64 v1, 0, v7, s3
	;; [unrolled: 1-line block ×4, first 2 shown]
	s_and_b32 s3, s2, s4
	s_wait_loadcnt 0x1
	s_wait_alu 0xfffe
	v_cndmask_b32_e64 v4, 0, v12, s3
	v_cndmask_b32_e64 v5, 0, v11, s3
	;; [unrolled: 1-line block ×4, first 2 shown]
	s_and_b32 s3, s2, s5
	s_wait_loadcnt 0x0
	s_wait_alu 0xfffe
	v_cndmask_b32_e64 v9, 0, v14, s3
	v_cndmask_b32_e64 v10, 0, v13, s3
	;; [unrolled: 1-line block ×4, first 2 shown]
	ds_store_2addr_stride64_b32 v25, v3, v2 offset0:72 offset1:74
	ds_store_2addr_stride64_b32 v25, v7, v6 offset1:2
	ds_store_2addr_stride64_b32 v25, v5, v4 offset0:4 offset1:6
	ds_store_2addr_stride64_b32 v25, v10, v9 offset0:8 offset1:10
	ds_store_2addr_stride64_b32 v25, v11, v8 offset0:12 offset1:14
	ds_store_2addr_stride64_b32 v25, v1, v0 offset0:76 offset1:78
.LBB5_1:                                ; =>This Inner Loop Header: Depth=1
	v_mul_hi_u32 v11, s25, v46
	v_mul_hi_u32 v12, s25, v45
	v_add_nc_u32_e32 v10, s63, v42
	v_mul_hi_u32 v13, s25, v44
	v_add_nc_u32_e32 v8, s63, v41
	v_add_nc_u32_e32 v9, s63, v40
	v_mul_hi_u32 v14, s25, v43
	v_add_nc_u32_e32 v15, s63, v39
	v_add_nc_u32_e32 v11, v10, v11
	;; [unrolled: 1-line block ×3, first 2 shown]
	v_cmp_gt_i32_e64 s11, s65, v8
	v_add_nc_u32_e32 v13, v9, v13
	v_cmp_gt_i32_e64 s9, s65, v9
	v_lshrrev_b32_e32 v16, s57, v11
	v_lshrrev_b32_e32 v17, s57, v12
	v_add_nc_u32_e32 v14, v15, v14
	v_lshrrev_b32_e32 v13, s57, v13
	s_add_co_i32 s7, s44, s68
	v_mul_lo_u32 v18, s71, v16
	v_mul_hi_u32 v19, v16, s24
	v_mad_co_u64_u32 v[11:12], null, s71, v17, v[8:9]
	v_mul_hi_u32 v12, v17, s24
	v_mad_co_u64_u32 v[8:9], null, s71, v13, v[9:10]
	v_lshrrev_b32_e32 v14, s57, v14
	v_mul_hi_u32 v9, v13, s24
	v_add_nc_u32_e32 v116, v10, v18
	v_sub_nc_u32_e32 v18, v18, v33
	v_add_nc_u32_e32 v19, v16, v19
	v_mul_lo_u32 v114, v14, s59
	v_mul_lo_u32 v111, s71, v14
	v_mul_hi_u32 v115, v14, s24
	v_add_nc_u32_e32 v12, v17, v12
	s_wait_alu 0xfffe
	v_add3_u32 v32, s7, s7, v32
	v_cmp_gt_i32_e64 s10, s65, v10
	v_add_nc_u32_e32 v9, v13, v9
	v_add_nc_u32_e32 v10, v10, v18
	v_lshrrev_b32_e32 v18, s56, v19
	s_add_co_i32 s8, s61, s69
	v_sub_nc_u32_e32 v117, v8, v11
	v_lshrrev_b32_e32 v12, s56, v12
	s_wait_alu 0xfffe
	v_add3_u32 v34, s8, s8, v34
	v_cmp_gt_i32_e64 s8, s65, v15
	v_sub_nc_u32_e32 v33, v32, v114
	v_add_nc_u32_e32 v15, v15, v111
	v_add_nc_u32_e32 v114, v14, v115
	v_sub_nc_u32_e32 v19, v11, v116
	v_lshrrev_b32_e32 v115, s56, v9
	v_mul_lo_u32 v116, v18, s58
	v_mul_lo_u32 v9, v117, s31
	v_sub_nc_u32_e32 v117, v18, v27
	v_sub_nc_u32_e32 v18, v12, v18
	;; [unrolled: 1-line block ×3, first 2 shown]
	v_mad_co_u64_u32 v[10:11], null, v10, s31, v[20:21]
	v_mul_lo_u32 v20, v12, s58
	v_sub_nc_u32_e32 v12, v115, v12
	v_lshrrev_b32_e32 v27, s56, v114
	v_sub_nc_u32_e32 v16, v16, v116
	v_mul_lo_u32 v8, v19, s31
	v_mul_lo_u32 v19, v115, s58
	;; [unrolled: 1-line block ×6, first 2 shown]
	v_sub_nc_u32_e32 v12, v27, v115
	v_sub_nc_u32_e32 v17, v17, v20
	;; [unrolled: 1-line block ×3, first 2 shown]
	v_mul_lo_u32 v118, v27, s58
	v_sub_nc_u32_e32 v20, v13, v19
	v_mul_lo_u32 v115, v12, s60
	v_mad_co_u64_u32 v[12:13], null, v114, s29, v[8:9]
	v_sub_nc_u32_e32 v16, v17, v16
	v_mad_co_u64_u32 v[18:19], null, v117, s29, v[9:10]
	v_mul_lo_u32 v9, v116, s62
	v_cmp_gt_i32_e64 s3, s66, v38
	v_cmp_gt_i32_e64 s4, s66, v37
	v_add_nc_u32_e32 v28, v15, v28
	v_mul_lo_u32 v13, v16, s62
	v_sub_nc_u32_e32 v29, v14, v118
	s_and_b32 s7, vcc_lo, s3
	s_and_b32 s3, vcc_lo, s4
	v_cmp_le_i32_e64 s4, s51, v28
	v_cmp_gt_i32_e64 s12, s27, v28
	v_add_nc_u32_e32 v14, v114, v28
	v_sub_nc_u32_e32 v8, v20, v17
	v_mad_co_u64_u32 v[16:17], null, v115, s29, v[11:12]
	v_mul_lo_u32 v15, v15, s29
	v_add_nc_u32_e32 v17, v9, v26
	v_mul_lo_u32 v9, v9, s30
	s_and_b32 s74, s4, s12
	v_cmp_le_i32_e64 s4, s51, v14
	v_cmp_gt_i32_e64 s12, s27, v14
	v_add_nc_u32_e32 v11, v117, v14
	v_mul_lo_u32 v8, v8, s62
	v_sub_nc_u32_e32 v19, v29, v20
	v_mul_lo_u32 v20, v13, s30
	s_and_b32 s73, s4, s12
	v_cmp_le_i32_e64 s4, s51, v11
	v_cmp_gt_i32_e64 s12, s27, v11
	v_add_nc_u32_e32 v28, v115, v11
	v_cmp_gt_i32_e64 s14, s23, v17
	v_add_nc_u32_e32 v11, v13, v17
	v_add3_u32 v13, v10, v15, v9
	v_mul_lo_u32 v14, v19, s62
	v_add_nc_u32_e32 v0, v30, v38
	v_cmp_le_i32_e64 s13, s64, v17
	s_and_b32 s72, s4, s12
	v_cmp_le_i32_e64 s4, s51, v28
	v_cmp_gt_i32_e64 s12, s27, v28
	s_and_b32 s75, s14, s10
	v_cmp_gt_i32_e64 s10, s23, v11
	v_add_nc_u32_e32 v15, v8, v11
	v_add3_u32 v20, v12, v13, v20
	v_add_nc_u32_e32 v1, v30, v37
	s_clause 0x1
	buffer_load_b128 v[4:7], v0, s[40:43], null offen
	buffer_load_b128 v[0:3], v1, s[40:43], null offen
	v_mul_lo_u32 v19, v8, s30
	v_mul_lo_u32 v17, v14, s30
	v_cmp_le_i32_e64 s14, s64, v11
	s_and_b32 s75, s75, s13
	s_and_b32 s13, s4, s12
	buffer_load_b128 v[8:11], v13, s[36:39], null offen
	s_and_b32 s12, s10, s11
	v_cmp_le_i32_e64 s10, s64, v15
	v_cmp_gt_i32_e64 s11, s23, v15
	v_add_nc_u32_e32 v26, v14, v15
	buffer_load_b128 v[12:15], v20, s[36:39], null offen
	s_wait_dscnt 0x0
	s_barrier_signal -1
	s_barrier_wait -1
	ds_load_b128 v[114:117], v21
	ds_load_b128 v[118:121], v22 offset:16384
	ds_load_b128 v[122:125], v22 offset:16640
	;; [unrolled: 1-line block ×17, first 2 shown]
	v_add_nc_u32_e32 v112, v30, v36
	v_add_nc_u32_e32 v113, v30, v35
	v_add3_u32 v18, v18, v19, v20
	s_and_b32 s14, s12, s14
	s_and_b32 s4, s74, s75
	s_wait_dscnt 0xe
	v_dot4_i32_iu8 v63, v126, v122, v63 neg_lo:[1,1,0]
	v_dot4_i32_iu8 v192, v127, v123, v54 neg_lo:[1,1,0]
	;; [unrolled: 1-line block ×10, first 2 shown]
	s_wait_dscnt 0xa
	v_dot4_i32_iu8 v63, v142, v134, v63 neg_lo:[1,1,0]
	v_add3_u32 v20, v16, v17, v18
	v_dot4_i32_iu8 v102, v114, v122, v102 neg_lo:[1,1,0]
	v_dot4_i32_iu8 v110, v114, v118, v110 neg_lo:[1,1,0]
	;; [unrolled: 1-line block ×32, first 2 shown]
	ds_load_b128 v[79:82], v22 offset:18688
	v_dot4_i32_iu8 v71, v126, v118, v71 neg_lo:[1,1,0]
	v_dot4_i32_iu8 v70, v126, v119, v70 neg_lo:[1,1,0]
	;; [unrolled: 1-line block ×16, first 2 shown]
	ds_load_b128 v[64:67], v21 offset:2304
	v_dot4_i32_iu8 v119, v126, v123, v62 neg_lo:[1,1,0]
	v_dot4_i32_iu8 v120, v126, v124, v60 neg_lo:[1,1,0]
	;; [unrolled: 1-line block ×6, first 2 shown]
	ds_load_b128 v[47:50], v21 offset:2560
	ds_load_b128 v[51:54], v22 offset:18944
	v_dot4_i32_iu8 v110, v138, v130, v110 neg_lo:[1,1,0]
	v_dot4_i32_iu8 v109, v138, v131, v109 neg_lo:[1,1,0]
	v_dot4_i32_iu8 v108, v138, v132, v108 neg_lo:[1,1,0]
	v_dot4_i32_iu8 v107, v138, v133, v107 neg_lo:[1,1,0]
	v_dot4_i32_iu8 v106, v139, v130, v106 neg_lo:[1,1,0]
	v_dot4_i32_iu8 v105, v139, v131, v105 neg_lo:[1,1,0]
	v_dot4_i32_iu8 v104, v139, v132, v104 neg_lo:[1,1,0]
	v_dot4_i32_iu8 v103, v139, v133, v103 neg_lo:[1,1,0]
	v_dot4_i32_iu8 v101, v140, v130, v101 neg_lo:[1,1,0]
	v_dot4_i32_iu8 v99, v140, v131, v99 neg_lo:[1,1,0]
	v_dot4_i32_iu8 v96, v140, v132, v96 neg_lo:[1,1,0]
	v_dot4_i32_iu8 v95, v140, v133, v95 neg_lo:[1,1,0]
	v_dot4_i32_iu8 v92, v141, v130, v92 neg_lo:[1,1,0]
	v_dot4_i32_iu8 v89, v141, v131, v89 neg_lo:[1,1,0]
	v_dot4_i32_iu8 v88, v141, v132, v88 neg_lo:[1,1,0]
	v_dot4_i32_iu8 v87, v141, v133, v87 neg_lo:[1,1,0]
	v_dot4_i32_iu8 v102, v138, v134, v102 neg_lo:[1,1,0]
	v_dot4_i32_iu8 v100, v138, v135, v100 neg_lo:[1,1,0]
	v_dot4_i32_iu8 v98, v138, v136, v98 neg_lo:[1,1,0]
	v_dot4_i32_iu8 v97, v138, v137, v97 neg_lo:[1,1,0]
	v_dot4_i32_iu8 v94, v139, v134, v94 neg_lo:[1,1,0]
	v_dot4_i32_iu8 v93, v139, v135, v93 neg_lo:[1,1,0]
	v_dot4_i32_iu8 v91, v139, v136, v91 neg_lo:[1,1,0]
	v_dot4_i32_iu8 v90, v139, v137, v90 neg_lo:[1,1,0]
	v_dot4_i32_iu8 v86, v140, v134, v86 neg_lo:[1,1,0]
	v_dot4_i32_iu8 v114, v140, v135, v114 neg_lo:[1,1,0]
	v_dot4_i32_iu8 v115, v140, v136, v115 neg_lo:[1,1,0]
	v_dot4_i32_iu8 v116, v140, v137, v116 neg_lo:[1,1,0]
	v_dot4_i32_iu8 v122, v141, v134, v186 neg_lo:[1,1,0]
	v_dot4_i32_iu8 v123, v141, v135, v74 neg_lo:[1,1,0]
	v_dot4_i32_iu8 v124, v141, v136, v73 neg_lo:[1,1,0]
	v_dot4_i32_iu8 v125, v141, v137, v72 neg_lo:[1,1,0]
	ds_load_b128 v[55:58], v22 offset:19200
	v_dot4_i32_iu8 v129, v142, v130, v71 neg_lo:[1,1,0]
	v_dot4_i32_iu8 v138, v142, v131, v70 neg_lo:[1,1,0]
	;; [unrolled: 1-line block ×16, first 2 shown]
	ds_load_b128 v[59:62], v21 offset:2816
	v_dot4_i32_iu8 v119, v142, v135, v119 neg_lo:[1,1,0]
	v_dot4_i32_iu8 v120, v142, v136, v120 neg_lo:[1,1,0]
	v_dot4_i32_iu8 v121, v142, v137, v121 neg_lo:[1,1,0]
	v_dot4_i32_iu8 v126, v143, v134, v126 neg_lo:[1,1,0]
	v_dot4_i32_iu8 v133, v143, v135, v192 neg_lo:[1,1,0]
	v_dot4_i32_iu8 v142, v143, v136, v193 neg_lo:[1,1,0]
	v_dot4_i32_iu8 v127, v143, v137, v127 neg_lo:[1,1,0]
	v_dot4_i32_iu8 v143, v144, v134, v194 neg_lo:[1,1,0]
	v_dot4_i32_iu8 v192, v144, v135, v195 neg_lo:[1,1,0]
	v_dot4_i32_iu8 v193, v144, v136, v196 neg_lo:[1,1,0]
	v_dot4_i32_iu8 v134, v145, v134, v75 neg_lo:[1,1,0]
	v_dot4_i32_iu8 v76, v145, v135, v76 neg_lo:[1,1,0]
	v_dot4_i32_iu8 v77, v145, v136, v77 neg_lo:[1,1,0]
	v_dot4_i32_iu8 v128, v144, v137, v128 neg_lo:[1,1,0]
	v_dot4_i32_iu8 v78, v145, v137, v78 neg_lo:[1,1,0]
	ds_load_b128 v[68:71], v21 offset:3072
	ds_load_b128 v[72:75], v22 offset:19456
	s_wait_dscnt 0xf
	v_dot4_i32_iu8 v110, v154, v146, v110 neg_lo:[1,1,0]
	v_dot4_i32_iu8 v109, v154, v147, v109 neg_lo:[1,1,0]
	v_dot4_i32_iu8 v108, v154, v148, v108 neg_lo:[1,1,0]
	v_dot4_i32_iu8 v107, v154, v149, v107 neg_lo:[1,1,0]
	v_dot4_i32_iu8 v106, v155, v146, v106 neg_lo:[1,1,0]
	v_dot4_i32_iu8 v105, v155, v147, v105 neg_lo:[1,1,0]
	v_dot4_i32_iu8 v104, v155, v148, v104 neg_lo:[1,1,0]
	v_dot4_i32_iu8 v103, v155, v149, v103 neg_lo:[1,1,0]
	v_dot4_i32_iu8 v101, v156, v146, v101 neg_lo:[1,1,0]
	v_dot4_i32_iu8 v99, v156, v147, v99 neg_lo:[1,1,0]
	v_dot4_i32_iu8 v135, v156, v148, v96 neg_lo:[1,1,0]
	v_dot4_i32_iu8 v136, v156, v149, v95 neg_lo:[1,1,0]
	v_dot4_i32_iu8 v137, v157, v146, v92 neg_lo:[1,1,0]
	v_dot4_i32_iu8 v144, v157, v147, v89 neg_lo:[1,1,0]
	v_dot4_i32_iu8 v145, v157, v148, v88 neg_lo:[1,1,0]
	v_dot4_i32_iu8 v194, v157, v149, v87 neg_lo:[1,1,0]
	v_dot4_i32_iu8 v102, v154, v150, v102 neg_lo:[1,1,0]
	v_dot4_i32_iu8 v100, v154, v151, v100 neg_lo:[1,1,0]
	v_dot4_i32_iu8 v195, v154, v152, v98 neg_lo:[1,1,0]
	v_dot4_i32_iu8 v154, v154, v153, v97 neg_lo:[1,1,0]
	v_dot4_i32_iu8 v196, v155, v150, v94 neg_lo:[1,1,0]
	v_dot4_i32_iu8 v197, v155, v151, v93 neg_lo:[1,1,0]
	v_dot4_i32_iu8 v198, v155, v152, v91 neg_lo:[1,1,0]
	v_dot4_i32_iu8 v155, v155, v153, v90 neg_lo:[1,1,0]
	v_dot4_i32_iu8 v199, v156, v150, v86 neg_lo:[1,1,0]
	v_dot4_i32_iu8 v114, v156, v151, v114 neg_lo:[1,1,0]
	v_dot4_i32_iu8 v115, v156, v152, v115 neg_lo:[1,1,0]
	v_dot4_i32_iu8 v116, v156, v153, v116 neg_lo:[1,1,0]
	v_dot4_i32_iu8 v122, v157, v150, v122 neg_lo:[1,1,0]
	v_dot4_i32_iu8 v123, v157, v151, v123 neg_lo:[1,1,0]
	v_dot4_i32_iu8 v124, v157, v152, v124 neg_lo:[1,1,0]
	v_dot4_i32_iu8 v125, v157, v153, v125 neg_lo:[1,1,0]
	ds_load_b128 v[83:86], v22 offset:19712
	ds_load_b128 v[87:90], v21 offset:3328
	s_wait_dscnt 0x10
	v_dot4_i32_iu8 v129, v158, v146, v129 neg_lo:[1,1,0]
	v_dot4_i32_iu8 v138, v158, v147, v138 neg_lo:[1,1,0]
	v_dot4_i32_iu8 v139, v158, v148, v139 neg_lo:[1,1,0]
	v_dot4_i32_iu8 v140, v158, v149, v140 neg_lo:[1,1,0]
	v_dot4_i32_iu8 v117, v159, v146, v117 neg_lo:[1,1,0]
	v_dot4_i32_iu8 v141, v159, v147, v141 neg_lo:[1,1,0]
	v_dot4_i32_iu8 v156, v159, v148, v186 neg_lo:[1,1,0]
	v_dot4_i32_iu8 v157, v159, v149, v187 neg_lo:[1,1,0]
	v_dot4_i32_iu8 v186, v160, v146, v188 neg_lo:[1,1,0]
	v_dot4_i32_iu8 v187, v160, v147, v189 neg_lo:[1,1,0]
	v_dot4_i32_iu8 v188, v160, v148, v190 neg_lo:[1,1,0]
	v_dot4_i32_iu8 v189, v160, v149, v191 neg_lo:[1,1,0]
	v_dot4_i32_iu8 v118, v161, v146, v118 neg_lo:[1,1,0]
	v_dot4_i32_iu8 v130, v161, v147, v130 neg_lo:[1,1,0]
	v_dot4_i32_iu8 v131, v161, v148, v131 neg_lo:[1,1,0]
	v_dot4_i32_iu8 v132, v161, v149, v132 neg_lo:[1,1,0]
	v_dot4_i32_iu8 v63, v158, v150, v63 neg_lo:[1,1,0]
	;; [unrolled: 35-line block ×4, first 2 shown]
	v_dot4_i32_iu8 v163, v174, v167, v119 neg_lo:[1,1,0]
	v_dot4_i32_iu8 v164, v174, v168, v120 neg_lo:[1,1,0]
	;; [unrolled: 1-line block ×15, first 2 shown]
	ds_load_b128 v[107:110], v21 offset:4096
	ds_load_b128 v[114:117], v22 offset:20480
	s_wait_dscnt 0x10
	v_dot4_i32_iu8 v148, v178, v182, v148 neg_lo:[1,1,0]
	v_dot4_i32_iu8 v149, v178, v183, v149 neg_lo:[1,1,0]
	;; [unrolled: 1-line block ×16, first 2 shown]
	s_wait_dscnt 0xf
	v_dot4_i32_iu8 v167, v178, v79, v191 neg_lo:[1,1,0]
	v_dot4_i32_iu8 v168, v178, v80, v192 neg_lo:[1,1,0]
	;; [unrolled: 1-line block ×16, first 2 shown]
	ds_load_b128 v[118:121], v22 offset:20736
	ds_load_b128 v[122:125], v21 offset:4352
	s_wait_dscnt 0x10
	v_dot4_i32_iu8 v129, v64, v182, v129 neg_lo:[1,1,0]
	v_dot4_i32_iu8 v138, v64, v183, v138 neg_lo:[1,1,0]
	v_dot4_i32_iu8 v139, v64, v184, v139 neg_lo:[1,1,0]
	v_dot4_i32_iu8 v140, v64, v185, v140 neg_lo:[1,1,0]
	v_dot4_i32_iu8 v173, v65, v182, v173 neg_lo:[1,1,0]
	v_dot4_i32_iu8 v141, v65, v183, v141 neg_lo:[1,1,0]
	v_dot4_i32_iu8 v156, v65, v184, v156 neg_lo:[1,1,0]
	v_dot4_i32_iu8 v157, v65, v185, v157 neg_lo:[1,1,0]
	v_dot4_i32_iu8 v186, v66, v182, v186 neg_lo:[1,1,0]
	v_dot4_i32_iu8 v187, v66, v183, v187 neg_lo:[1,1,0]
	v_dot4_i32_iu8 v188, v66, v184, v188 neg_lo:[1,1,0]
	v_dot4_i32_iu8 v189, v66, v185, v189 neg_lo:[1,1,0]
	v_dot4_i32_iu8 v162, v67, v182, v162 neg_lo:[1,1,0]
	v_dot4_i32_iu8 v130, v67, v183, v130 neg_lo:[1,1,0]
	v_dot4_i32_iu8 v131, v67, v184, v131 neg_lo:[1,1,0]
	v_dot4_i32_iu8 v132, v67, v185, v132 neg_lo:[1,1,0]
	v_dot4_i32_iu8 v182, v64, v79, v63 neg_lo:[1,1,0]
	v_dot4_i32_iu8 v163, v64, v80, v163 neg_lo:[1,1,0]
	v_dot4_i32_iu8 v164, v64, v81, v164 neg_lo:[1,1,0]
	v_dot4_i32_iu8 v165, v64, v82, v165 neg_lo:[1,1,0]
	v_dot4_i32_iu8 v126, v65, v79, v126 neg_lo:[1,1,0]
	v_dot4_i32_iu8 v133, v65, v80, v133 neg_lo:[1,1,0]
	v_dot4_i32_iu8 v142, v65, v81, v142 neg_lo:[1,1,0]
	v_dot4_i32_iu8 v143, v66, v79, v143 neg_lo:[1,1,0]
	v_dot4_i32_iu8 v146, v66, v80, v146 neg_lo:[1,1,0]
	v_dot4_i32_iu8 v147, v66, v81, v147 neg_lo:[1,1,0]
	v_dot4_i32_iu8 v134, v67, v79, v134 neg_lo:[1,1,0]
	v_dot4_i32_iu8 v80, v67, v80, v76 neg_lo:[1,1,0]
	v_dot4_i32_iu8 v81, v67, v81, v77 neg_lo:[1,1,0]
	v_dot4_i32_iu8 v127, v65, v82, v127 neg_lo:[1,1,0]
	v_dot4_i32_iu8 v128, v66, v82, v128 neg_lo:[1,1,0]
	v_dot4_i32_iu8 v67, v67, v82, v78 neg_lo:[1,1,0]
	ds_load_b128 v[63:66], v21 offset:4608
	ds_load_b128 v[76:79], v22 offset:20992
	s_wait_dscnt 0x10
	v_dot4_i32_iu8 v82, v47, v51, v148 neg_lo:[1,1,0]
	v_dot4_i32_iu8 v148, v47, v52, v149 neg_lo:[1,1,0]
	;; [unrolled: 1-line block ×16, first 2 shown]
	s_wait_dscnt 0xf
	v_dot4_i32_iu8 v166, v47, v55, v167 neg_lo:[1,1,0]
	v_dot4_i32_iu8 v167, v47, v56, v168 neg_lo:[1,1,0]
	;; [unrolled: 1-line block ×16, first 2 shown]
	ds_load_b128 v[47:50], v22 offset:21248
	s_wait_dscnt 0xf
	v_dot4_i32_iu8 v129, v59, v51, v129 neg_lo:[1,1,0]
	v_dot4_i32_iu8 v138, v59, v52, v138 neg_lo:[1,1,0]
	;; [unrolled: 1-line block ×16, first 2 shown]
	ds_load_b128 v[51:54], v21 offset:4864
	v_dot4_i32_iu8 v182, v59, v55, v182 neg_lo:[1,1,0]
	v_dot4_i32_iu8 v163, v59, v56, v163 neg_lo:[1,1,0]
	;; [unrolled: 1-line block ×16, first 2 shown]
	ds_load_b128 v[55:58], v21 offset:5120
	ds_load_b128 v[59:62], v22 offset:21504
	s_wait_dscnt 0x10
	v_dot4_i32_iu8 v187, v68, v72, v82 neg_lo:[1,1,0]
	v_dot4_i32_iu8 v148, v68, v73, v148 neg_lo:[1,1,0]
	;; [unrolled: 1-line block ×16, first 2 shown]
	s_wait_dscnt 0xf
	v_dot4_i32_iu8 v166, v68, v83, v166 neg_lo:[1,1,0]
	v_dot4_i32_iu8 v167, v68, v84, v167 neg_lo:[1,1,0]
	;; [unrolled: 1-line block ×16, first 2 shown]
	ds_load_b128 v[67:70], v22 offset:21760
	s_wait_dscnt 0xf
	v_dot4_i32_iu8 v129, v87, v72, v129 neg_lo:[1,1,0]
	v_dot4_i32_iu8 v138, v87, v73, v138 neg_lo:[1,1,0]
	;; [unrolled: 1-line block ×16, first 2 shown]
	ds_load_b128 v[71:74], v21 offset:5376
	v_dot4_i32_iu8 v132, v87, v83, v182 neg_lo:[1,1,0]
	v_dot4_i32_iu8 v163, v87, v84, v163 neg_lo:[1,1,0]
	;; [unrolled: 1-line block ×16, first 2 shown]
	ds_load_b128 v[80:83], v21 offset:5632
	ds_load_b128 v[84:87], v22 offset:22016
	s_wait_dscnt 0x10
	v_dot4_i32_iu8 v187, v91, v95, v187 neg_lo:[1,1,0]
	v_dot4_i32_iu8 v148, v91, v96, v148 neg_lo:[1,1,0]
	;; [unrolled: 1-line block ×16, first 2 shown]
	s_wait_dscnt 0xf
	v_dot4_i32_iu8 v166, v91, v99, v166 neg_lo:[1,1,0]
	v_dot4_i32_iu8 v167, v91, v100, v167 neg_lo:[1,1,0]
	;; [unrolled: 1-line block ×16, first 2 shown]
	ds_load_b128 v[88:91], v22 offset:22272
	s_wait_dscnt 0xf
	v_dot4_i32_iu8 v129, v103, v95, v129 neg_lo:[1,1,0]
	v_dot4_i32_iu8 v138, v103, v96, v138 neg_lo:[1,1,0]
	;; [unrolled: 1-line block ×13, first 2 shown]
	ds_load_b128 v[92:95], v21 offset:5888
	v_dot4_i32_iu8 v132, v103, v99, v132 neg_lo:[1,1,0]
	v_dot4_i32_iu8 v163, v103, v100, v163 neg_lo:[1,1,0]
	;; [unrolled: 1-line block ×19, first 2 shown]
	s_wait_dscnt 0xe
	v_dot4_i32_iu8 v150, v107, v117, v150 neg_lo:[1,1,0]
	v_dot4_i32_iu8 v151, v108, v114, v151 neg_lo:[1,1,0]
	;; [unrolled: 1-line block ×10, first 2 shown]
	s_wait_dscnt 0xd
	v_dot4_i32_iu8 v166, v107, v118, v166 neg_lo:[1,1,0]
	v_dot4_i32_iu8 v167, v107, v119, v167 neg_lo:[1,1,0]
	;; [unrolled: 1-line block ×14, first 2 shown]
	s_wait_dscnt 0xc
	v_dot4_i32_iu8 v129, v122, v114, v129 neg_lo:[1,1,0]
	v_dot4_i32_iu8 v138, v122, v115, v138 neg_lo:[1,1,0]
	;; [unrolled: 1-line block ×40, first 2 shown]
	s_wait_dscnt 0xa
	v_dot4_i32_iu8 v150, v63, v79, v150 neg_lo:[1,1,0]
	v_dot4_i32_iu8 v158, v64, v79, v158 neg_lo:[1,1,0]
	;; [unrolled: 1-line block ×4, first 2 shown]
	s_wait_dscnt 0x9
	v_dot4_i32_iu8 v166, v63, v47, v166 neg_lo:[1,1,0]
	v_dot4_i32_iu8 v167, v63, v48, v167 neg_lo:[1,1,0]
	;; [unrolled: 1-line block ×12, first 2 shown]
	s_wait_dscnt 0x8
	v_dot4_i32_iu8 v129, v51, v76, v129 neg_lo:[1,1,0]
	v_dot4_i32_iu8 v138, v51, v77, v138 neg_lo:[1,1,0]
	;; [unrolled: 1-line block ×48, first 2 shown]
	s_wait_dscnt 0x6
	v_dot4_i32_iu8 v150, v55, v62, v150 neg_lo:[1,1,0]
	v_dot4_i32_iu8 v158, v56, v62, v158 neg_lo:[1,1,0]
	;; [unrolled: 1-line block ×4, first 2 shown]
	s_wait_dscnt 0x5
	v_dot4_i32_iu8 v166, v55, v67, v166 neg_lo:[1,1,0]
	v_dot4_i32_iu8 v167, v55, v68, v167 neg_lo:[1,1,0]
	;; [unrolled: 1-line block ×12, first 2 shown]
	s_wait_dscnt 0x4
	v_dot4_i32_iu8 v186, v71, v59, v129 neg_lo:[1,1,0]
	v_dot4_i32_iu8 v138, v71, v60, v138 neg_lo:[1,1,0]
	;; [unrolled: 1-line block ×22, first 2 shown]
	ds_load_b128 v[96:99], v21 offset:6144
	ds_load_b128 v[100:103], v22 offset:22528
	;; [unrolled: 1-line block ×10, first 2 shown]
	v_dot4_i32_iu8 v185, v55, v59, v185 neg_lo:[1,1,0]
	v_dot4_i32_iu8 v148, v55, v60, v148 neg_lo:[1,1,0]
	;; [unrolled: 1-line block ×16, first 2 shown]
	ds_load_b128 v[55:58], v22 offset:23808
	v_dot4_i32_iu8 v173, v72, v59, v173 neg_lo:[1,1,0]
	v_dot4_i32_iu8 v141, v72, v60, v141 neg_lo:[1,1,0]
	;; [unrolled: 1-line block ×7, first 2 shown]
	ds_load_b128 v[59:62], v21 offset:7424
	v_dot4_i32_iu8 v191, v72, v70, v127 neg_lo:[1,1,0]
	v_dot4_i32_iu8 v192, v73, v70, v128 neg_lo:[1,1,0]
	;; [unrolled: 1-line block ×3, first 2 shown]
	ds_load_b128 v[67:70], v21 offset:7680
	ds_load_b128 v[71:74], v22 offset:24064
	s_wait_dscnt 0x10
	v_dot4_i32_iu8 v150, v80, v87, v150 neg_lo:[1,1,0]
	v_dot4_i32_iu8 v158, v81, v87, v158 neg_lo:[1,1,0]
	;; [unrolled: 1-line block ×4, first 2 shown]
	s_wait_dscnt 0xf
	v_dot4_i32_iu8 v166, v80, v88, v166 neg_lo:[1,1,0]
	v_dot4_i32_iu8 v167, v80, v89, v167 neg_lo:[1,1,0]
	;; [unrolled: 1-line block ×12, first 2 shown]
	buffer_load_b128 v[126:129], v112, s[40:43], null offen
	s_wait_dscnt 0xe
	v_dot4_i32_iu8 v112, v92, v84, v186 neg_lo:[1,1,0]
	v_dot4_i32_iu8 v138, v92, v85, v138 neg_lo:[1,1,0]
	;; [unrolled: 1-line block ×9, first 2 shown]
	buffer_load_b128 v[130:133], v113, s[40:43], null offen
	v_dot4_i32_iu8 v113, v92, v88, v188 neg_lo:[1,1,0]
	v_dot4_i32_iu8 v163, v92, v89, v163 neg_lo:[1,1,0]
	;; [unrolled: 1-line block ×13, first 2 shown]
	s_clause 0x1
	buffer_load_b128 v[87:90], v18, s[36:39], null offen
	buffer_load_b128 v[16:19], v20, s[36:39], null offen
	v_dot4_i32_iu8 v185, v80, v84, v185 neg_lo:[1,1,0]
	v_dot4_i32_iu8 v148, v80, v85, v148 neg_lo:[1,1,0]
	;; [unrolled: 1-line block ×16, first 2 shown]
	ds_load_b128 v[79:82], v22 offset:24320
	v_dot4_i32_iu8 v173, v93, v84, v173 neg_lo:[1,1,0]
	v_dot4_i32_iu8 v141, v93, v85, v141 neg_lo:[1,1,0]
	;; [unrolled: 1-line block ×7, first 2 shown]
	ds_load_b128 v[83:86], v21 offset:7936
	v_dot4_i32_iu8 v93, v93, v91, v191 neg_lo:[1,1,0]
	v_dot4_i32_iu8 v94, v94, v91, v192 neg_lo:[1,1,0]
	v_dot4_i32_iu8 v91, v95, v91, v184 neg_lo:[1,1,0]
	s_wait_dscnt 0xe
	v_dot4_i32_iu8 v95, v96, v100, v185 neg_lo:[1,1,0]
	v_dot4_i32_iu8 v148, v96, v101, v148 neg_lo:[1,1,0]
	v_dot4_i32_iu8 v149, v96, v102, v149 neg_lo:[1,1,0]
	v_dot4_i32_iu8 v150, v96, v103, v150 neg_lo:[1,1,0]
	v_dot4_i32_iu8 v151, v97, v100, v151 neg_lo:[1,1,0]
	v_dot4_i32_iu8 v152, v97, v101, v152 neg_lo:[1,1,0]
	v_dot4_i32_iu8 v153, v97, v102, v153 neg_lo:[1,1,0]
	v_dot4_i32_iu8 v158, v97, v103, v158 neg_lo:[1,1,0]
	v_dot4_i32_iu8 v159, v98, v100, v159 neg_lo:[1,1,0]
	v_dot4_i32_iu8 v160, v98, v101, v160 neg_lo:[1,1,0]
	v_dot4_i32_iu8 v135, v98, v102, v135 neg_lo:[1,1,0]
	v_dot4_i32_iu8 v136, v98, v103, v136 neg_lo:[1,1,0]
	v_dot4_i32_iu8 v137, v99, v100, v137 neg_lo:[1,1,0]
	v_dot4_i32_iu8 v144, v99, v101, v144 neg_lo:[1,1,0]
	v_dot4_i32_iu8 v145, v99, v102, v145 neg_lo:[1,1,0]
	v_dot4_i32_iu8 v161, v99, v103, v161 neg_lo:[1,1,0]
	s_wait_dscnt 0xd
	v_dot4_i32_iu8 v166, v96, v104, v166 neg_lo:[1,1,0]
	v_dot4_i32_iu8 v167, v96, v105, v167 neg_lo:[1,1,0]
	v_dot4_i32_iu8 v168, v96, v106, v168 neg_lo:[1,1,0]
	v_dot4_i32_iu8 v96, v96, v107, v154 neg_lo:[1,1,0]
	v_dot4_i32_iu8 v154, v97, v104, v169 neg_lo:[1,1,0]
	v_dot4_i32_iu8 v169, v97, v105, v170 neg_lo:[1,1,0]
	v_dot4_i32_iu8 v170, v97, v106, v174 neg_lo:[1,1,0]
	v_dot4_i32_iu8 v97, v97, v107, v108 neg_lo:[1,1,0]
	v_dot4_i32_iu8 v108, v98, v104, v155 neg_lo:[1,1,0]
	v_dot4_i32_iu8 v155, v98, v105, v171 neg_lo:[1,1,0]
	v_dot4_i32_iu8 v171, v98, v106, v175 neg_lo:[1,1,0]
	v_dot4_i32_iu8 v98, v98, v107, v109 neg_lo:[1,1,0]
	v_dot4_i32_iu8 v109, v99, v104, v172 neg_lo:[1,1,0]
	;; [unrolled: 17-line block ×3, first 2 shown]
	v_dot4_i32_iu8 v101, v117, v101, v186 neg_lo:[1,1,0]
	v_dot4_i32_iu8 v102, v117, v102, v193 neg_lo:[1,1,0]
	v_dot4_i32_iu8 v103, v117, v103, v187 neg_lo:[1,1,0]
	v_dot4_i32_iu8 v113, v114, v104, v113 neg_lo:[1,1,0]
	v_dot4_i32_iu8 v162, v114, v105, v163 neg_lo:[1,1,0]
	v_dot4_i32_iu8 v163, v114, v106, v164 neg_lo:[1,1,0]
	v_dot4_i32_iu8 v92, v114, v107, v92 neg_lo:[1,1,0]
	v_dot4_i32_iu8 v114, v115, v104, v165 neg_lo:[1,1,0]
	v_dot4_i32_iu8 v164, v115, v105, v188 neg_lo:[1,1,0]
	v_dot4_i32_iu8 v142, v115, v106, v142 neg_lo:[1,1,0]
	v_dot4_i32_iu8 v93, v115, v107, v93 neg_lo:[1,1,0]
	v_dot4_i32_iu8 v115, v116, v104, v143 neg_lo:[1,1,0]
	v_dot4_i32_iu8 v143, v116, v105, v146 neg_lo:[1,1,0]
	v_dot4_i32_iu8 v146, v116, v106, v147 neg_lo:[1,1,0]
	v_dot4_i32_iu8 v94, v116, v107, v94 neg_lo:[1,1,0]
	v_dot4_i32_iu8 v104, v117, v104, v134 neg_lo:[1,1,0]
	v_dot4_i32_iu8 v105, v117, v105, v182 neg_lo:[1,1,0]
	v_dot4_i32_iu8 v106, v117, v106, v183 neg_lo:[1,1,0]
	v_dot4_i32_iu8 v91, v117, v107, v91 neg_lo:[1,1,0]
	s_wait_dscnt 0xa
	v_dot4_i32_iu8 v95, v118, v122, v95 neg_lo:[1,1,0]
	v_dot4_i32_iu8 v107, v118, v123, v148 neg_lo:[1,1,0]
	v_dot4_i32_iu8 v116, v118, v124, v149 neg_lo:[1,1,0]
	v_dot4_i32_iu8 v117, v118, v125, v150 neg_lo:[1,1,0]
	v_dot4_i32_iu8 v134, v119, v122, v151 neg_lo:[1,1,0]
	v_dot4_i32_iu8 v147, v119, v123, v152 neg_lo:[1,1,0]
	v_dot4_i32_iu8 v148, v119, v124, v153 neg_lo:[1,1,0]
	v_dot4_i32_iu8 v149, v119, v125, v158 neg_lo:[1,1,0]
	v_dot4_i32_iu8 v150, v120, v122, v159 neg_lo:[1,1,0]
	v_dot4_i32_iu8 v151, v120, v123, v160 neg_lo:[1,1,0]
	v_dot4_i32_iu8 v135, v120, v124, v135 neg_lo:[1,1,0]
	v_dot4_i32_iu8 v136, v120, v125, v136 neg_lo:[1,1,0]
	v_dot4_i32_iu8 v137, v121, v122, v137 neg_lo:[1,1,0]
	v_dot4_i32_iu8 v144, v121, v123, v144 neg_lo:[1,1,0]
	v_dot4_i32_iu8 v145, v121, v124, v145 neg_lo:[1,1,0]
	v_dot4_i32_iu8 v152, v121, v125, v161 neg_lo:[1,1,0]
	s_wait_dscnt 0x9
	v_dot4_i32_iu8 v153, v118, v63, v166 neg_lo:[1,1,0]
	v_dot4_i32_iu8 v158, v118, v64, v167 neg_lo:[1,1,0]
	v_dot4_i32_iu8 v159, v118, v65, v168 neg_lo:[1,1,0]
	v_dot4_i32_iu8 v96, v118, v66, v96 neg_lo:[1,1,0]
	v_dot4_i32_iu8 v118, v119, v63, v154 neg_lo:[1,1,0]
	v_dot4_i32_iu8 v154, v119, v64, v169 neg_lo:[1,1,0]
	v_dot4_i32_iu8 v160, v119, v65, v170 neg_lo:[1,1,0]
	v_dot4_i32_iu8 v97, v119, v66, v97 neg_lo:[1,1,0]
	v_dot4_i32_iu8 v108, v120, v63, v108 neg_lo:[1,1,0]
	v_dot4_i32_iu8 v119, v120, v64, v155 neg_lo:[1,1,0]
	v_dot4_i32_iu8 v155, v120, v65, v171 neg_lo:[1,1,0]
	v_dot4_i32_iu8 v98, v120, v66, v98 neg_lo:[1,1,0]
	v_dot4_i32_iu8 v109, v121, v63, v109 neg_lo:[1,1,0]
	v_dot4_i32_iu8 v120, v121, v64, v172 neg_lo:[1,1,0]
	v_dot4_i32_iu8 v161, v121, v65, v174 neg_lo:[1,1,0]
	v_dot4_i32_iu8 v99, v121, v66, v99 neg_lo:[1,1,0]
	;; [unrolled: 17-line block ×3, first 2 shown]
	v_dot4_i32_iu8 v113, v75, v63, v113 neg_lo:[1,1,0]
	v_dot4_i32_iu8 v122, v75, v64, v162 neg_lo:[1,1,0]
	;; [unrolled: 1-line block ×16, first 2 shown]
	s_wait_loadcnt 0x7
	v_cndmask_b32_e64 v5, 0, v5, s7
	v_cndmask_b32_e64 v4, 0, v4, s7
	s_and_b32 s14, s73, s14
	v_cndmask_b32_e64 v7, 0, v7, s7
	v_cndmask_b32_e64 v6, 0, v6, s7
	s_wait_loadcnt 0x6
	v_cndmask_b32_e64 v1, 0, v1, s3
	v_cndmask_b32_e64 v0, 0, v0, s3
	s_and_b32 s4, s2, s4
	s_and_b32 s73, s11, s9
	;; [unrolled: 1-line block ×3, first 2 shown]
	v_cndmask_b32_e64 v3, 0, v3, s3
	v_cndmask_b32_e64 v2, 0, v2, s3
	v_cmp_gt_i32_e64 s5, s66, v36
	s_wait_dscnt 0x6
	v_dot4_i32_iu8 v78, v47, v51, v95 neg_lo:[1,1,0]
	v_dot4_i32_iu8 v91, v47, v52, v107 neg_lo:[1,1,0]
	v_dot4_i32_iu8 v94, v47, v53, v116 neg_lo:[1,1,0]
	v_dot4_i32_iu8 v95, v47, v54, v117 neg_lo:[1,1,0]
	v_dot4_i32_iu8 v104, v48, v51, v134 neg_lo:[1,1,0]
	v_dot4_i32_iu8 v105, v48, v52, v147 neg_lo:[1,1,0]
	v_dot4_i32_iu8 v106, v48, v53, v148 neg_lo:[1,1,0]
	v_dot4_i32_iu8 v107, v48, v54, v149 neg_lo:[1,1,0]
	v_dot4_i32_iu8 v116, v49, v51, v150 neg_lo:[1,1,0]
	v_dot4_i32_iu8 v117, v49, v52, v151 neg_lo:[1,1,0]
	v_dot4_i32_iu8 v134, v49, v53, v135 neg_lo:[1,1,0]
	v_dot4_i32_iu8 v135, v49, v54, v136 neg_lo:[1,1,0]
	v_dot4_i32_iu8 v136, v50, v51, v137 neg_lo:[1,1,0]
	v_dot4_i32_iu8 v137, v50, v52, v144 neg_lo:[1,1,0]
	v_dot4_i32_iu8 v142, v50, v53, v145 neg_lo:[1,1,0]
	v_dot4_i32_iu8 v143, v50, v54, v152 neg_lo:[1,1,0]
	s_wait_dscnt 0x5
	v_dot4_i32_iu8 v144, v47, v55, v153 neg_lo:[1,1,0]
	v_dot4_i32_iu8 v145, v47, v56, v158 neg_lo:[1,1,0]
	v_dot4_i32_iu8 v146, v47, v57, v159 neg_lo:[1,1,0]
	v_dot4_i32_iu8 v47, v47, v58, v96 neg_lo:[1,1,0]
	v_dot4_i32_iu8 v96, v48, v55, v118 neg_lo:[1,1,0]
	v_dot4_i32_iu8 v118, v48, v56, v154 neg_lo:[1,1,0]
	v_dot4_i32_iu8 v147, v48, v57, v160 neg_lo:[1,1,0]
	v_dot4_i32_iu8 v48, v48, v58, v97 neg_lo:[1,1,0]
	v_dot4_i32_iu8 v97, v49, v55, v108 neg_lo:[1,1,0]
	v_dot4_i32_iu8 v108, v49, v56, v119 neg_lo:[1,1,0]
	v_dot4_i32_iu8 v119, v49, v57, v155 neg_lo:[1,1,0]
	v_dot4_i32_iu8 v49, v49, v58, v98 neg_lo:[1,1,0]
	v_dot4_i32_iu8 v98, v50, v55, v109 neg_lo:[1,1,0]
	v_dot4_i32_iu8 v109, v50, v56, v120 neg_lo:[1,1,0]
	v_dot4_i32_iu8 v120, v50, v57, v161 neg_lo:[1,1,0]
	v_dot4_i32_iu8 v50, v50, v58, v99 neg_lo:[1,1,0]
	;; [unrolled: 17-line block ×3, first 2 shown]
	v_dot4_i32_iu8 v100, v59, v55, v113 neg_lo:[1,1,0]
	v_dot4_i32_iu8 v101, v59, v56, v122 neg_lo:[1,1,0]
	;; [unrolled: 1-line block ×16, first 2 shown]
	ds_store_2addr_stride64_b32 v25, v4, v5 offset0:96 offset1:98
	ds_store_2addr_stride64_b32 v25, v6, v7 offset0:100 offset1:102
	;; [unrolled: 1-line block ×4, first 2 shown]
	s_wait_loadcnt 0x5
	s_wait_alu 0xfffe
	v_cndmask_b32_e64 v2, 0, v9, s4
	v_cndmask_b32_e64 v3, 0, v8, s4
	s_wait_loadcnt 0x4
	v_cndmask_b32_e64 v13, 0, v13, s9
	v_cndmask_b32_e64 v12, 0, v12, s9
	;; [unrolled: 1-line block ×6, first 2 shown]
	v_cmp_gt_i32_e64 s11, s23, v26
	v_cmp_gt_i32_e64 s6, s66, v35
	s_and_b32 s12, vcc_lo, s5
	v_cmp_le_i32_e64 s5, s64, v26
	s_and_b32 s10, s73, s10
	s_wait_dscnt 0x6
	v_dot4_i32_iu8 v124, v67, v71, v78 neg_lo:[1,1,0]
	v_dot4_i32_iu8 v125, v67, v72, v91 neg_lo:[1,1,0]
	v_dot4_i32_iu8 v152, v67, v73, v94 neg_lo:[1,1,0]
	v_dot4_i32_iu8 v153, v67, v74, v95 neg_lo:[1,1,0]
	v_dot4_i32_iu8 v154, v68, v71, v104 neg_lo:[1,1,0]
	v_dot4_i32_iu8 v155, v68, v72, v105 neg_lo:[1,1,0]
	v_dot4_i32_iu8 v156, v68, v73, v106 neg_lo:[1,1,0]
	v_dot4_i32_iu8 v157, v68, v74, v107 neg_lo:[1,1,0]
	v_dot4_i32_iu8 v158, v69, v71, v116 neg_lo:[1,1,0]
	v_dot4_i32_iu8 v159, v69, v72, v117 neg_lo:[1,1,0]
	v_dot4_i32_iu8 v134, v69, v73, v134 neg_lo:[1,1,0]
	v_dot4_i32_iu8 v135, v69, v74, v135 neg_lo:[1,1,0]
	v_dot4_i32_iu8 v136, v70, v71, v136 neg_lo:[1,1,0]
	v_dot4_i32_iu8 v137, v70, v72, v137 neg_lo:[1,1,0]
	v_dot4_i32_iu8 v142, v70, v73, v142 neg_lo:[1,1,0]
	v_dot4_i32_iu8 v143, v70, v74, v143 neg_lo:[1,1,0]
	s_wait_dscnt 0x5
	v_dot4_i32_iu8 v144, v67, v79, v144 neg_lo:[1,1,0]
	v_dot4_i32_iu8 v145, v67, v80, v145 neg_lo:[1,1,0]
	v_dot4_i32_iu8 v146, v67, v81, v146 neg_lo:[1,1,0]
	v_dot4_i32_iu8 v160, v67, v82, v47 neg_lo:[1,1,0]
	v_dot4_i32_iu8 v161, v68, v79, v96 neg_lo:[1,1,0]
	v_dot4_i32_iu8 v162, v68, v80, v118 neg_lo:[1,1,0]
	v_dot4_i32_iu8 v147, v68, v81, v147 neg_lo:[1,1,0]
	v_dot4_i32_iu8 v163, v68, v82, v48 neg_lo:[1,1,0]
	v_dot4_i32_iu8 v164, v69, v79, v97 neg_lo:[1,1,0]
	v_dot4_i32_iu8 v165, v69, v80, v108 neg_lo:[1,1,0]
	v_dot4_i32_iu8 v166, v69, v81, v119 neg_lo:[1,1,0]
	v_dot4_i32_iu8 v167, v69, v82, v49 neg_lo:[1,1,0]
	v_dot4_i32_iu8 v168, v70, v79, v98 neg_lo:[1,1,0]
	v_dot4_i32_iu8 v169, v70, v80, v109 neg_lo:[1,1,0]
	v_dot4_i32_iu8 v170, v70, v81, v120 neg_lo:[1,1,0]
	v_dot4_i32_iu8 v171, v70, v82, v50 neg_lo:[1,1,0]
	;; [unrolled: 17-line block ×3, first 2 shown]
	v_dot4_i32_iu8 v180, v83, v79, v100 neg_lo:[1,1,0]
	v_dot4_i32_iu8 v181, v83, v80, v101 neg_lo:[1,1,0]
	;; [unrolled: 1-line block ×16, first 2 shown]
	ds_store_2addr_stride64_b32 v25, v3, v2 offset0:32 offset1:34
	ds_store_2addr_stride64_b32 v25, v1, v0 offset0:36 offset1:38
	;; [unrolled: 1-line block ×4, first 2 shown]
	s_wait_dscnt 0x0
	s_barrier_signal -1
	s_barrier_wait -1
	ds_load_b128 v[12:15], v22 offset:24576
	ds_load_b128 v[47:50], v22 offset:24832
	;; [unrolled: 1-line block ×18, first 2 shown]
	s_and_b32 s10, s72, s10
	s_and_b32 s8, s11, s8
	s_and_b32 s6, vcc_lo, s6
	s_wait_alu 0xfffe
	s_and_b32 s5, s8, s5
	s_and_b32 s8, s2, s10
	s_wait_loadcnt 0x3
	v_cndmask_b32_e64 v6, 0, v129, s12
	v_cndmask_b32_e64 v7, 0, v128, s12
	;; [unrolled: 1-line block ×4, first 2 shown]
	s_wait_loadcnt 0x2
	v_cndmask_b32_e64 v4, 0, v133, s6
	v_cndmask_b32_e64 v5, 0, v132, s6
	;; [unrolled: 1-line block ×4, first 2 shown]
	s_wait_loadcnt 0x1
	s_wait_alu 0xfffe
	v_cndmask_b32_e64 v0, 0, v90, s8
	v_cndmask_b32_e64 v1, 0, v89, s8
	;; [unrolled: 1-line block ×4, first 2 shown]
	ds_load_b128 v[87:90], v21 offset:10240
	ds_load_b128 v[120:123], v21 offset:10496
	s_wait_dscnt 0x11
	v_dot4_i32_iu8 v124, v51, v12, v124 neg_lo:[1,1,0]
	v_dot4_i32_iu8 v125, v51, v13, v125 neg_lo:[1,1,0]
	;; [unrolled: 1-line block ×32, first 2 shown]
	s_wait_dscnt 0x10
	v_dot4_i32_iu8 v164, v55, v12, v172 neg_lo:[1,1,0]
	v_dot4_i32_iu8 v165, v55, v13, v173 neg_lo:[1,1,0]
	;; [unrolled: 1-line block ×32, first 2 shown]
	ds_load_b128 v[51:54], v22 offset:27136
	ds_load_b128 v[12:15], v22 offset:27392
	;; [unrolled: 1-line block ×4, first 2 shown]
	s_wait_dscnt 0x11
	v_dot4_i32_iu8 v124, v67, v59, v124 neg_lo:[1,1,0]
	v_dot4_i32_iu8 v125, v67, v60, v125 neg_lo:[1,1,0]
	;; [unrolled: 1-line block ×32, first 2 shown]
	s_wait_dscnt 0x10
	v_dot4_i32_iu8 v164, v71, v59, v164 neg_lo:[1,1,0]
	v_dot4_i32_iu8 v165, v71, v60, v165 neg_lo:[1,1,0]
	v_dot4_i32_iu8 v166, v71, v61, v166 neg_lo:[1,1,0]
	v_dot4_i32_iu8 v167, v71, v62, v167 neg_lo:[1,1,0]
	v_dot4_i32_iu8 v138, v72, v59, v138 neg_lo:[1,1,0]
	v_dot4_i32_iu8 v139, v72, v60, v139 neg_lo:[1,1,0]
	v_dot4_i32_iu8 v140, v72, v61, v140 neg_lo:[1,1,0]
	v_dot4_i32_iu8 v141, v72, v62, v141 neg_lo:[1,1,0]
	v_dot4_i32_iu8 v148, v73, v59, v148 neg_lo:[1,1,0]
	v_dot4_i32_iu8 v149, v73, v60, v149 neg_lo:[1,1,0]
	v_dot4_i32_iu8 v150, v73, v61, v150 neg_lo:[1,1,0]
	v_dot4_i32_iu8 v151, v73, v62, v151 neg_lo:[1,1,0]
	v_dot4_i32_iu8 v168, v74, v59, v168 neg_lo:[1,1,0]
	v_dot4_i32_iu8 v169, v74, v60, v169 neg_lo:[1,1,0]
	v_dot4_i32_iu8 v170, v74, v61, v170 neg_lo:[1,1,0]
	v_dot4_i32_iu8 v171, v74, v62, v171 neg_lo:[1,1,0]
	v_dot4_i32_iu8 v172, v71, v63, v172 neg_lo:[1,1,0]
	v_dot4_i32_iu8 v173, v71, v64, v173 neg_lo:[1,1,0]
	v_dot4_i32_iu8 v174, v71, v65, v174 neg_lo:[1,1,0]
	v_dot4_i32_iu8 v175, v71, v66, v175 neg_lo:[1,1,0]
	v_dot4_i32_iu8 v176, v72, v63, v176 neg_lo:[1,1,0]
	v_dot4_i32_iu8 v177, v72, v64, v177 neg_lo:[1,1,0]
	v_dot4_i32_iu8 v178, v72, v65, v178 neg_lo:[1,1,0]
	v_dot4_i32_iu8 v179, v72, v66, v179 neg_lo:[1,1,0]
	v_dot4_i32_iu8 v180, v73, v63, v180 neg_lo:[1,1,0]
	v_dot4_i32_iu8 v181, v73, v64, v181 neg_lo:[1,1,0]
	v_dot4_i32_iu8 v182, v73, v65, v182 neg_lo:[1,1,0]
	v_dot4_i32_iu8 v183, v73, v66, v183 neg_lo:[1,1,0]
	v_dot4_i32_iu8 v184, v74, v63, v184 neg_lo:[1,1,0]
	v_dot4_i32_iu8 v185, v74, v64, v185 neg_lo:[1,1,0]
	v_dot4_i32_iu8 v186, v74, v65, v186 neg_lo:[1,1,0]
	v_dot4_i32_iu8 v187, v74, v66, v187 neg_lo:[1,1,0]
	ds_load_b128 v[67:70], v22 offset:27648
	ds_load_b128 v[59:62], v22 offset:27904
	;; [unrolled: 1-line block ×4, first 2 shown]
	s_wait_dscnt 0x11
	v_dot4_i32_iu8 v124, v83, v75, v124 neg_lo:[1,1,0]
	v_dot4_i32_iu8 v125, v83, v76, v125 neg_lo:[1,1,0]
	;; [unrolled: 1-line block ×32, first 2 shown]
	s_wait_dscnt 0x10
	v_dot4_i32_iu8 v164, v91, v75, v164 neg_lo:[1,1,0]
	v_dot4_i32_iu8 v165, v91, v76, v165 neg_lo:[1,1,0]
	;; [unrolled: 1-line block ×32, first 2 shown]
	ds_load_b128 v[83:86], v22 offset:28160
	ds_load_b128 v[75:78], v22 offset:28416
	;; [unrolled: 1-line block ×4, first 2 shown]
	s_wait_dscnt 0x11
	v_dot4_i32_iu8 v124, v103, v95, v124 neg_lo:[1,1,0]
	v_dot4_i32_iu8 v125, v103, v96, v125 neg_lo:[1,1,0]
	;; [unrolled: 1-line block ×32, first 2 shown]
	s_wait_dscnt 0x10
	v_dot4_i32_iu8 v164, v107, v95, v164 neg_lo:[1,1,0]
	v_dot4_i32_iu8 v165, v107, v96, v165 neg_lo:[1,1,0]
	v_dot4_i32_iu8 v166, v107, v97, v166 neg_lo:[1,1,0]
	v_dot4_i32_iu8 v167, v107, v98, v167 neg_lo:[1,1,0]
	v_dot4_i32_iu8 v138, v108, v95, v138 neg_lo:[1,1,0]
	v_dot4_i32_iu8 v139, v108, v96, v139 neg_lo:[1,1,0]
	v_dot4_i32_iu8 v140, v108, v97, v140 neg_lo:[1,1,0]
	v_dot4_i32_iu8 v141, v108, v98, v141 neg_lo:[1,1,0]
	v_dot4_i32_iu8 v148, v109, v95, v148 neg_lo:[1,1,0]
	v_dot4_i32_iu8 v149, v109, v96, v149 neg_lo:[1,1,0]
	v_dot4_i32_iu8 v150, v109, v97, v150 neg_lo:[1,1,0]
	v_dot4_i32_iu8 v151, v109, v98, v151 neg_lo:[1,1,0]
	v_dot4_i32_iu8 v168, v110, v95, v168 neg_lo:[1,1,0]
	v_dot4_i32_iu8 v169, v110, v96, v169 neg_lo:[1,1,0]
	v_dot4_i32_iu8 v170, v110, v97, v170 neg_lo:[1,1,0]
	v_dot4_i32_iu8 v171, v110, v98, v171 neg_lo:[1,1,0]
	v_dot4_i32_iu8 v172, v107, v99, v172 neg_lo:[1,1,0]
	v_dot4_i32_iu8 v173, v107, v100, v173 neg_lo:[1,1,0]
	v_dot4_i32_iu8 v174, v107, v101, v174 neg_lo:[1,1,0]
	v_dot4_i32_iu8 v175, v107, v102, v175 neg_lo:[1,1,0]
	v_dot4_i32_iu8 v176, v108, v99, v176 neg_lo:[1,1,0]
	v_dot4_i32_iu8 v177, v108, v100, v177 neg_lo:[1,1,0]
	v_dot4_i32_iu8 v178, v108, v101, v178 neg_lo:[1,1,0]
	v_dot4_i32_iu8 v179, v108, v102, v179 neg_lo:[1,1,0]
	v_dot4_i32_iu8 v180, v109, v99, v180 neg_lo:[1,1,0]
	v_dot4_i32_iu8 v181, v109, v100, v181 neg_lo:[1,1,0]
	v_dot4_i32_iu8 v182, v109, v101, v182 neg_lo:[1,1,0]
	v_dot4_i32_iu8 v183, v109, v102, v183 neg_lo:[1,1,0]
	v_dot4_i32_iu8 v184, v110, v99, v184 neg_lo:[1,1,0]
	v_dot4_i32_iu8 v185, v110, v100, v185 neg_lo:[1,1,0]
	v_dot4_i32_iu8 v186, v110, v101, v186 neg_lo:[1,1,0]
	v_dot4_i32_iu8 v187, v110, v102, v187 neg_lo:[1,1,0]
	ds_load_b128 v[103:106], v22 offset:28672
	ds_load_b128 v[95:98], v22 offset:28928
	;; [unrolled: 1-line block ×4, first 2 shown]
	s_wait_dscnt 0x11
	v_dot4_i32_iu8 v124, v87, v112, v124 neg_lo:[1,1,0]
	v_dot4_i32_iu8 v125, v87, v113, v125 neg_lo:[1,1,0]
	;; [unrolled: 1-line block ×32, first 2 shown]
	s_wait_dscnt 0x10
	v_dot4_i32_iu8 v164, v120, v112, v164 neg_lo:[1,1,0]
	v_dot4_i32_iu8 v165, v120, v113, v165 neg_lo:[1,1,0]
	;; [unrolled: 1-line block ×32, first 2 shown]
	ds_load_b128 v[87:90], v22 offset:29184
	ds_load_b128 v[112:115], v22 offset:29440
	;; [unrolled: 1-line block ×4, first 2 shown]
	s_wait_dscnt 0x11
	v_dot4_i32_iu8 v124, v47, v51, v124 neg_lo:[1,1,0]
	v_dot4_i32_iu8 v125, v47, v52, v125 neg_lo:[1,1,0]
	v_dot4_i32_iu8 v126, v47, v53, v126 neg_lo:[1,1,0]
	v_dot4_i32_iu8 v127, v47, v54, v127 neg_lo:[1,1,0]
	v_dot4_i32_iu8 v128, v48, v51, v128 neg_lo:[1,1,0]
	v_dot4_i32_iu8 v129, v48, v52, v129 neg_lo:[1,1,0]
	v_dot4_i32_iu8 v130, v48, v53, v130 neg_lo:[1,1,0]
	v_dot4_i32_iu8 v131, v48, v54, v131 neg_lo:[1,1,0]
	v_dot4_i32_iu8 v132, v49, v51, v132 neg_lo:[1,1,0]
	v_dot4_i32_iu8 v133, v49, v52, v133 neg_lo:[1,1,0]
	v_dot4_i32_iu8 v134, v49, v53, v134 neg_lo:[1,1,0]
	v_dot4_i32_iu8 v135, v49, v54, v135 neg_lo:[1,1,0]
	v_dot4_i32_iu8 v136, v50, v51, v136 neg_lo:[1,1,0]
	v_dot4_i32_iu8 v137, v50, v52, v137 neg_lo:[1,1,0]
	v_dot4_i32_iu8 v142, v50, v53, v142 neg_lo:[1,1,0]
	v_dot4_i32_iu8 v143, v50, v54, v143 neg_lo:[1,1,0]
	v_dot4_i32_iu8 v144, v47, v12, v144 neg_lo:[1,1,0]
	v_dot4_i32_iu8 v145, v47, v13, v145 neg_lo:[1,1,0]
	v_dot4_i32_iu8 v146, v47, v14, v146 neg_lo:[1,1,0]
	v_dot4_i32_iu8 v152, v47, v15, v152 neg_lo:[1,1,0]
	v_dot4_i32_iu8 v153, v48, v12, v153 neg_lo:[1,1,0]
	v_dot4_i32_iu8 v154, v48, v13, v154 neg_lo:[1,1,0]
	v_dot4_i32_iu8 v147, v48, v14, v147 neg_lo:[1,1,0]
	v_dot4_i32_iu8 v155, v48, v15, v155 neg_lo:[1,1,0]
	v_dot4_i32_iu8 v156, v49, v12, v156 neg_lo:[1,1,0]
	v_dot4_i32_iu8 v157, v49, v13, v157 neg_lo:[1,1,0]
	v_dot4_i32_iu8 v158, v49, v14, v158 neg_lo:[1,1,0]
	v_dot4_i32_iu8 v159, v49, v15, v159 neg_lo:[1,1,0]
	v_dot4_i32_iu8 v160, v50, v12, v160 neg_lo:[1,1,0]
	v_dot4_i32_iu8 v161, v50, v13, v161 neg_lo:[1,1,0]
	v_dot4_i32_iu8 v162, v50, v14, v162 neg_lo:[1,1,0]
	v_dot4_i32_iu8 v163, v50, v15, v163 neg_lo:[1,1,0]
	s_wait_dscnt 0x10
	v_dot4_i32_iu8 v164, v55, v51, v164 neg_lo:[1,1,0]
	v_dot4_i32_iu8 v165, v55, v52, v165 neg_lo:[1,1,0]
	v_dot4_i32_iu8 v166, v55, v53, v166 neg_lo:[1,1,0]
	v_dot4_i32_iu8 v167, v55, v54, v167 neg_lo:[1,1,0]
	v_dot4_i32_iu8 v138, v56, v51, v138 neg_lo:[1,1,0]
	v_dot4_i32_iu8 v139, v56, v52, v139 neg_lo:[1,1,0]
	v_dot4_i32_iu8 v140, v56, v53, v140 neg_lo:[1,1,0]
	v_dot4_i32_iu8 v141, v56, v54, v141 neg_lo:[1,1,0]
	v_dot4_i32_iu8 v148, v57, v51, v148 neg_lo:[1,1,0]
	v_dot4_i32_iu8 v149, v57, v52, v149 neg_lo:[1,1,0]
	v_dot4_i32_iu8 v150, v57, v53, v150 neg_lo:[1,1,0]
	v_dot4_i32_iu8 v151, v57, v54, v151 neg_lo:[1,1,0]
	v_dot4_i32_iu8 v168, v58, v51, v168 neg_lo:[1,1,0]
	v_dot4_i32_iu8 v169, v58, v52, v169 neg_lo:[1,1,0]
	v_dot4_i32_iu8 v170, v58, v53, v170 neg_lo:[1,1,0]
	v_dot4_i32_iu8 v171, v58, v54, v171 neg_lo:[1,1,0]
	v_dot4_i32_iu8 v172, v55, v12, v172 neg_lo:[1,1,0]
	v_dot4_i32_iu8 v173, v55, v13, v173 neg_lo:[1,1,0]
	v_dot4_i32_iu8 v174, v55, v14, v174 neg_lo:[1,1,0]
	v_dot4_i32_iu8 v175, v55, v15, v175 neg_lo:[1,1,0]
	v_dot4_i32_iu8 v176, v56, v12, v176 neg_lo:[1,1,0]
	v_dot4_i32_iu8 v177, v56, v13, v177 neg_lo:[1,1,0]
	v_dot4_i32_iu8 v178, v56, v14, v178 neg_lo:[1,1,0]
	v_dot4_i32_iu8 v179, v56, v15, v179 neg_lo:[1,1,0]
	v_dot4_i32_iu8 v180, v57, v12, v180 neg_lo:[1,1,0]
	v_dot4_i32_iu8 v181, v57, v13, v181 neg_lo:[1,1,0]
	v_dot4_i32_iu8 v182, v57, v14, v182 neg_lo:[1,1,0]
	v_dot4_i32_iu8 v183, v57, v15, v183 neg_lo:[1,1,0]
	v_dot4_i32_iu8 v184, v58, v12, v184 neg_lo:[1,1,0]
	v_dot4_i32_iu8 v185, v58, v13, v185 neg_lo:[1,1,0]
	v_dot4_i32_iu8 v186, v58, v14, v186 neg_lo:[1,1,0]
	v_dot4_i32_iu8 v187, v58, v15, v187 neg_lo:[1,1,0]
	;; [unrolled: 33-line block ×4, first 2 shown]
	ds_load_b128 v[47:50], v22 offset:29696
	ds_load_b128 v[51:54], v22 offset:29952
	;; [unrolled: 1-line block ×4, first 2 shown]
	s_wait_dscnt 0xd
	v_dot4_i32_iu8 v124, v79, v83, v124 neg_lo:[1,1,0]
	v_dot4_i32_iu8 v125, v79, v84, v125 neg_lo:[1,1,0]
	v_dot4_i32_iu8 v126, v79, v85, v126 neg_lo:[1,1,0]
	v_dot4_i32_iu8 v127, v79, v86, v127 neg_lo:[1,1,0]
	v_dot4_i32_iu8 v128, v80, v83, v128 neg_lo:[1,1,0]
	v_dot4_i32_iu8 v129, v80, v84, v129 neg_lo:[1,1,0]
	v_dot4_i32_iu8 v130, v80, v85, v130 neg_lo:[1,1,0]
	v_dot4_i32_iu8 v131, v80, v86, v131 neg_lo:[1,1,0]
	v_dot4_i32_iu8 v132, v81, v83, v132 neg_lo:[1,1,0]
	v_dot4_i32_iu8 v133, v81, v84, v133 neg_lo:[1,1,0]
	v_dot4_i32_iu8 v134, v81, v85, v134 neg_lo:[1,1,0]
	v_dot4_i32_iu8 v135, v81, v86, v135 neg_lo:[1,1,0]
	v_dot4_i32_iu8 v136, v82, v83, v136 neg_lo:[1,1,0]
	v_dot4_i32_iu8 v137, v82, v84, v137 neg_lo:[1,1,0]
	v_dot4_i32_iu8 v142, v82, v85, v142 neg_lo:[1,1,0]
	v_dot4_i32_iu8 v143, v82, v86, v143 neg_lo:[1,1,0]
	v_dot4_i32_iu8 v144, v79, v75, v144 neg_lo:[1,1,0]
	v_dot4_i32_iu8 v145, v79, v76, v145 neg_lo:[1,1,0]
	v_dot4_i32_iu8 v146, v79, v77, v146 neg_lo:[1,1,0]
	v_dot4_i32_iu8 v152, v79, v78, v152 neg_lo:[1,1,0]
	v_dot4_i32_iu8 v153, v80, v75, v153 neg_lo:[1,1,0]
	v_dot4_i32_iu8 v154, v80, v76, v154 neg_lo:[1,1,0]
	v_dot4_i32_iu8 v147, v80, v77, v147 neg_lo:[1,1,0]
	v_dot4_i32_iu8 v155, v80, v78, v155 neg_lo:[1,1,0]
	v_dot4_i32_iu8 v156, v81, v75, v156 neg_lo:[1,1,0]
	v_dot4_i32_iu8 v157, v81, v76, v157 neg_lo:[1,1,0]
	v_dot4_i32_iu8 v158, v81, v77, v158 neg_lo:[1,1,0]
	v_dot4_i32_iu8 v159, v81, v78, v159 neg_lo:[1,1,0]
	v_dot4_i32_iu8 v160, v82, v75, v160 neg_lo:[1,1,0]
	v_dot4_i32_iu8 v161, v82, v76, v161 neg_lo:[1,1,0]
	v_dot4_i32_iu8 v162, v82, v77, v162 neg_lo:[1,1,0]
	v_dot4_i32_iu8 v163, v82, v78, v163 neg_lo:[1,1,0]
	s_wait_dscnt 0xc
	v_dot4_i32_iu8 v164, v91, v83, v164 neg_lo:[1,1,0]
	v_dot4_i32_iu8 v165, v91, v84, v165 neg_lo:[1,1,0]
	v_dot4_i32_iu8 v166, v91, v85, v166 neg_lo:[1,1,0]
	v_dot4_i32_iu8 v167, v91, v86, v167 neg_lo:[1,1,0]
	v_dot4_i32_iu8 v138, v92, v83, v138 neg_lo:[1,1,0]
	v_dot4_i32_iu8 v139, v92, v84, v139 neg_lo:[1,1,0]
	v_dot4_i32_iu8 v140, v92, v85, v140 neg_lo:[1,1,0]
	v_dot4_i32_iu8 v141, v92, v86, v141 neg_lo:[1,1,0]
	v_dot4_i32_iu8 v148, v93, v83, v148 neg_lo:[1,1,0]
	v_dot4_i32_iu8 v149, v93, v84, v149 neg_lo:[1,1,0]
	v_dot4_i32_iu8 v150, v93, v85, v150 neg_lo:[1,1,0]
	v_dot4_i32_iu8 v151, v93, v86, v151 neg_lo:[1,1,0]
	v_dot4_i32_iu8 v168, v94, v83, v168 neg_lo:[1,1,0]
	v_dot4_i32_iu8 v169, v94, v84, v169 neg_lo:[1,1,0]
	v_dot4_i32_iu8 v170, v94, v85, v170 neg_lo:[1,1,0]
	v_dot4_i32_iu8 v171, v94, v86, v171 neg_lo:[1,1,0]
	v_dot4_i32_iu8 v172, v91, v75, v172 neg_lo:[1,1,0]
	v_dot4_i32_iu8 v173, v91, v76, v173 neg_lo:[1,1,0]
	v_dot4_i32_iu8 v174, v91, v77, v174 neg_lo:[1,1,0]
	v_dot4_i32_iu8 v175, v91, v78, v175 neg_lo:[1,1,0]
	v_dot4_i32_iu8 v176, v92, v75, v176 neg_lo:[1,1,0]
	v_dot4_i32_iu8 v177, v92, v76, v177 neg_lo:[1,1,0]
	v_dot4_i32_iu8 v178, v92, v77, v178 neg_lo:[1,1,0]
	v_dot4_i32_iu8 v179, v92, v78, v179 neg_lo:[1,1,0]
	v_dot4_i32_iu8 v180, v93, v75, v180 neg_lo:[1,1,0]
	v_dot4_i32_iu8 v181, v93, v76, v181 neg_lo:[1,1,0]
	v_dot4_i32_iu8 v182, v93, v77, v182 neg_lo:[1,1,0]
	v_dot4_i32_iu8 v183, v93, v78, v183 neg_lo:[1,1,0]
	v_dot4_i32_iu8 v184, v94, v75, v184 neg_lo:[1,1,0]
	v_dot4_i32_iu8 v185, v94, v76, v185 neg_lo:[1,1,0]
	v_dot4_i32_iu8 v186, v94, v77, v186 neg_lo:[1,1,0]
	v_dot4_i32_iu8 v187, v94, v78, v187 neg_lo:[1,1,0]
	;; [unrolled: 33-line block ×4, first 2 shown]
	ds_load_b128 v[63:66], v22 offset:30208
	ds_load_b128 v[67:70], v22 offset:30464
	;; [unrolled: 1-line block ×12, first 2 shown]
	s_wait_dscnt 0x11
	v_dot4_i32_iu8 v188, v116, v87, v124 neg_lo:[1,1,0]
	v_dot4_i32_iu8 v189, v116, v88, v125 neg_lo:[1,1,0]
	v_dot4_i32_iu8 v190, v116, v89, v126 neg_lo:[1,1,0]
	v_dot4_i32_iu8 v191, v116, v90, v127 neg_lo:[1,1,0]
	v_dot4_i32_iu8 v128, v117, v87, v128 neg_lo:[1,1,0]
	v_dot4_i32_iu8 v129, v117, v88, v129 neg_lo:[1,1,0]
	v_dot4_i32_iu8 v130, v117, v89, v130 neg_lo:[1,1,0]
	v_dot4_i32_iu8 v131, v117, v90, v131 neg_lo:[1,1,0]
	v_dot4_i32_iu8 v132, v118, v87, v132 neg_lo:[1,1,0]
	v_dot4_i32_iu8 v133, v118, v88, v133 neg_lo:[1,1,0]
	v_dot4_i32_iu8 v134, v118, v89, v134 neg_lo:[1,1,0]
	v_dot4_i32_iu8 v135, v118, v90, v135 neg_lo:[1,1,0]
	v_dot4_i32_iu8 v136, v119, v87, v136 neg_lo:[1,1,0]
	v_dot4_i32_iu8 v137, v119, v88, v137 neg_lo:[1,1,0]
	v_dot4_i32_iu8 v142, v119, v89, v142 neg_lo:[1,1,0]
	v_dot4_i32_iu8 v143, v119, v90, v143 neg_lo:[1,1,0]
	v_dot4_i32_iu8 v144, v116, v112, v144 neg_lo:[1,1,0]
	v_dot4_i32_iu8 v145, v116, v113, v145 neg_lo:[1,1,0]
	v_dot4_i32_iu8 v146, v116, v114, v146 neg_lo:[1,1,0]
	v_dot4_i32_iu8 v152, v116, v115, v152 neg_lo:[1,1,0]
	v_dot4_i32_iu8 v153, v117, v112, v153 neg_lo:[1,1,0]
	v_dot4_i32_iu8 v154, v117, v113, v154 neg_lo:[1,1,0]
	v_dot4_i32_iu8 v147, v117, v114, v147 neg_lo:[1,1,0]
	v_dot4_i32_iu8 v155, v117, v115, v155 neg_lo:[1,1,0]
	v_dot4_i32_iu8 v156, v118, v112, v156 neg_lo:[1,1,0]
	v_dot4_i32_iu8 v157, v118, v113, v157 neg_lo:[1,1,0]
	v_dot4_i32_iu8 v158, v118, v114, v158 neg_lo:[1,1,0]
	v_dot4_i32_iu8 v159, v118, v115, v159 neg_lo:[1,1,0]
	v_dot4_i32_iu8 v160, v119, v112, v160 neg_lo:[1,1,0]
	v_dot4_i32_iu8 v161, v119, v113, v161 neg_lo:[1,1,0]
	v_dot4_i32_iu8 v162, v119, v114, v162 neg_lo:[1,1,0]
	v_dot4_i32_iu8 v163, v119, v115, v163 neg_lo:[1,1,0]
	ds_load_b128 v[116:119], v22 offset:32256
	ds_load_b128 v[124:127], v22 offset:32512
	s_wait_dscnt 0x12
	v_dot4_i32_iu8 v164, v120, v87, v164 neg_lo:[1,1,0]
	v_dot4_i32_iu8 v165, v120, v88, v165 neg_lo:[1,1,0]
	;; [unrolled: 1-line block ×32, first 2 shown]
	ds_load_b128 v[112:115], v21 offset:15872
	ds_load_b128 v[120:123], v21 offset:16128
	ds_store_2addr_stride64_b32 v25, v9, v8 offset0:64 offset1:66
	ds_load_b128 v[87:90], v21 offset:14336
	ds_store_2addr_stride64_b32 v25, v7, v6 offset0:68 offset1:70
	ds_store_2addr_stride64_b32 v25, v11, v10 offset0:72 offset1:74
	ds_load_b128 v[6:9], v21 offset:14592
	s_and_b32 s5, s13, s5
	s_wait_dscnt 0x16
	v_dot4_i32_iu8 v188, v12, v47, v188 neg_lo:[1,1,0]
	s_wait_alu 0xfffe
	s_and_b32 s5, s2, s5
	v_dot4_i32_iu8 v189, v12, v48, v189 neg_lo:[1,1,0]
	s_wait_loadcnt 0x0
	s_wait_alu 0xfffe
	v_cndmask_b32_e64 v192, 0, v17, s5
	v_cndmask_b32_e64 v193, 0, v16, s5
	v_dot4_i32_iu8 v190, v12, v49, v190 neg_lo:[1,1,0]
	v_dot4_i32_iu8 v191, v12, v50, v191 neg_lo:[1,1,0]
	;; [unrolled: 1-line block ×30, first 2 shown]
	ds_load_b128 v[10:13], v21 offset:14848
	ds_load_b128 v[14:17], v21 offset:15104
	s_wait_dscnt 0x17
	v_dot4_i32_iu8 v164, v55, v47, v164 neg_lo:[1,1,0]
	v_dot4_i32_iu8 v165, v55, v48, v165 neg_lo:[1,1,0]
	;; [unrolled: 1-line block ×16, first 2 shown]
	ds_store_2addr_stride64_b32 v25, v5, v4 offset0:76 offset1:78
	v_dot4_i32_iu8 v4, v55, v51, v172 neg_lo:[1,1,0]
	v_dot4_i32_iu8 v5, v55, v52, v173 neg_lo:[1,1,0]
	v_dot4_i32_iu8 v168, v55, v53, v174 neg_lo:[1,1,0]
	v_dot4_i32_iu8 v55, v55, v54, v175 neg_lo:[1,1,0]
	v_dot4_i32_iu8 v169, v56, v51, v176 neg_lo:[1,1,0]
	v_dot4_i32_iu8 v170, v56, v52, v177 neg_lo:[1,1,0]
	v_dot4_i32_iu8 v171, v56, v53, v178 neg_lo:[1,1,0]
	v_dot4_i32_iu8 v56, v56, v54, v179 neg_lo:[1,1,0]
	v_dot4_i32_iu8 v172, v57, v51, v180 neg_lo:[1,1,0]
	v_dot4_i32_iu8 v173, v57, v52, v181 neg_lo:[1,1,0]
	v_dot4_i32_iu8 v174, v57, v53, v182 neg_lo:[1,1,0]
	v_dot4_i32_iu8 v57, v57, v54, v183 neg_lo:[1,1,0]
	v_dot4_i32_iu8 v51, v58, v51, v184 neg_lo:[1,1,0]
	v_dot4_i32_iu8 v52, v58, v52, v185 neg_lo:[1,1,0]
	v_dot4_i32_iu8 v53, v58, v53, v186 neg_lo:[1,1,0]
	v_dot4_i32_iu8 v54, v58, v54, v187 neg_lo:[1,1,0]
	s_wait_dscnt 0x15
	v_dot4_i32_iu8 v58, v59, v63, v188 neg_lo:[1,1,0]
	v_dot4_i32_iu8 v175, v59, v64, v189 neg_lo:[1,1,0]
	v_dot4_i32_iu8 v176, v59, v65, v190 neg_lo:[1,1,0]
	v_dot4_i32_iu8 v177, v59, v66, v191 neg_lo:[1,1,0]
	v_dot4_i32_iu8 v128, v60, v63, v128 neg_lo:[1,1,0]
	v_dot4_i32_iu8 v129, v60, v64, v129 neg_lo:[1,1,0]
	v_dot4_i32_iu8 v130, v60, v65, v130 neg_lo:[1,1,0]
	v_dot4_i32_iu8 v131, v60, v66, v131 neg_lo:[1,1,0]
	v_dot4_i32_iu8 v132, v61, v63, v132 neg_lo:[1,1,0]
	v_dot4_i32_iu8 v133, v61, v64, v133 neg_lo:[1,1,0]
	v_dot4_i32_iu8 v134, v61, v65, v134 neg_lo:[1,1,0]
	v_dot4_i32_iu8 v135, v61, v66, v135 neg_lo:[1,1,0]
	v_dot4_i32_iu8 v136, v62, v63, v136 neg_lo:[1,1,0]
	v_dot4_i32_iu8 v137, v62, v64, v137 neg_lo:[1,1,0]
	v_dot4_i32_iu8 v142, v62, v65, v142 neg_lo:[1,1,0]
	v_dot4_i32_iu8 v143, v62, v66, v143 neg_lo:[1,1,0]
	v_dot4_i32_iu8 v144, v59, v67, v144 neg_lo:[1,1,0]
	v_dot4_i32_iu8 v145, v59, v68, v145 neg_lo:[1,1,0]
	v_dot4_i32_iu8 v146, v59, v69, v146 neg_lo:[1,1,0]
	v_dot4_i32_iu8 v59, v59, v70, v152 neg_lo:[1,1,0]
	v_dot4_i32_iu8 v152, v60, v67, v153 neg_lo:[1,1,0]
	v_dot4_i32_iu8 v153, v60, v68, v154 neg_lo:[1,1,0]
	v_dot4_i32_iu8 v147, v60, v69, v147 neg_lo:[1,1,0]
	v_dot4_i32_iu8 v60, v60, v70, v155 neg_lo:[1,1,0]
	v_dot4_i32_iu8 v154, v61, v67, v156 neg_lo:[1,1,0]
	v_dot4_i32_iu8 v155, v61, v68, v157 neg_lo:[1,1,0]
	v_dot4_i32_iu8 v156, v61, v69, v158 neg_lo:[1,1,0]
	v_dot4_i32_iu8 v61, v61, v70, v159 neg_lo:[1,1,0]
	v_dot4_i32_iu8 v157, v62, v67, v160 neg_lo:[1,1,0]
	v_dot4_i32_iu8 v158, v62, v68, v161 neg_lo:[1,1,0]
	v_dot4_i32_iu8 v159, v62, v69, v162 neg_lo:[1,1,0]
	v_dot4_i32_iu8 v62, v62, v70, v163 neg_lo:[1,1,0]
	s_wait_dscnt 0x14
	v_dot4_i32_iu8 v160, v71, v63, v164 neg_lo:[1,1,0]
	v_dot4_i32_iu8 v161, v71, v64, v165 neg_lo:[1,1,0]
	v_dot4_i32_iu8 v162, v71, v65, v166 neg_lo:[1,1,0]
	v_dot4_i32_iu8 v163, v71, v66, v167 neg_lo:[1,1,0]
	v_dot4_i32_iu8 v138, v72, v63, v138 neg_lo:[1,1,0]
	v_dot4_i32_iu8 v139, v72, v64, v139 neg_lo:[1,1,0]
	v_dot4_i32_iu8 v140, v72, v65, v140 neg_lo:[1,1,0]
	v_dot4_i32_iu8 v141, v72, v66, v141 neg_lo:[1,1,0]
	v_dot4_i32_iu8 v148, v73, v63, v148 neg_lo:[1,1,0]
	v_dot4_i32_iu8 v149, v73, v64, v149 neg_lo:[1,1,0]
	v_dot4_i32_iu8 v150, v73, v65, v150 neg_lo:[1,1,0]
	v_dot4_i32_iu8 v151, v73, v66, v151 neg_lo:[1,1,0]
	v_dot4_i32_iu8 v47, v74, v63, v47 neg_lo:[1,1,0]
	v_dot4_i32_iu8 v48, v74, v64, v48 neg_lo:[1,1,0]
	v_dot4_i32_iu8 v49, v74, v65, v49 neg_lo:[1,1,0]
	v_dot4_i32_iu8 v50, v74, v66, v50 neg_lo:[1,1,0]
	;; [unrolled: 33-line block ×6, first 2 shown]
	v_dot4_i32_iu8 v4, v14, v91, v4 neg_lo:[1,1,0]
	v_dot4_i32_iu8 v5, v14, v92, v5 neg_lo:[1,1,0]
	;; [unrolled: 1-line block ×80, first 2 shown]
	v_add_nc_u32_e32 v35, s48, v35
	v_add_nc_u32_e32 v36, s48, v36
	;; [unrolled: 1-line block ×8, first 2 shown]
	v_dot4_i32_iu8 v110, v112, v116, v17 neg_lo:[1,1,0]
	v_dot4_i32_iu8 v109, v112, v117, v53 neg_lo:[1,1,0]
	;; [unrolled: 1-line block ×64, first 2 shown]
	s_add_co_i32 s70, s70, 32
	s_add_co_i32 s63, s63, s50
	s_wait_alu 0xfffe
	s_cmp_lt_i32 s70, s46
	v_cndmask_b32_e64 v19, 0, v19, s5
	v_cndmask_b32_e64 v18, 0, v18, s5
	ds_store_2addr_stride64_b32 v25, v3, v2 offset1:2
	ds_store_2addr_stride64_b32 v25, v1, v0 offset0:4 offset1:6
	ds_store_2addr_stride64_b32 v25, v193, v192 offset0:8 offset1:10
	;; [unrolled: 1-line block ×3, first 2 shown]
	s_cbranch_scc1 .LBB5_1
; %bb.2:
	v_add_nc_u32_e32 v1, s69, v34
	s_load_b64 s[4:5], s[0:1], 0x10
	s_mul_u64 s[0:1], s[18:19], s[20:21]
	s_mul_u64 s[6:7], s[16:17], s[20:21]
	s_add_nc_u64 s[20:21], s[54:55], s[0:1]
	v_add_nc_u32_e32 v4, s61, v1
	v_cmp_gt_i32_e64 s1, s66, v1
	s_wait_dscnt 0x0
	s_barrier_signal -1
	s_barrier_wait -1
	v_cmp_gt_i32_e64 s0, s66, v4
	s_and_b32 s1, vcc_lo, s1
	ds_load_b128 v[12:15], v22 offset:16384
	ds_load_b128 v[16:19], v22 offset:16640
	s_and_b32 s21, s21, 0xffff
	s_and_b32 vcc_lo, vcc_lo, s0
	v_add_nc_u32_e32 v0, 4, v31
	ds_load_b128 v[31:34], v21
	ds_load_b128 v[35:38], v21 offset:256
	ds_load_b128 v[39:42], v22 offset:16896
	ds_load_b128 v[43:46], v22 offset:17152
	ds_load_b128 v[112:115], v21 offset:512
	ds_load_b128 v[116:119], v21 offset:768
	ds_load_b128 v[120:123], v22 offset:17408
	ds_load_b128 v[124:127], v22 offset:17664
	ds_load_b128 v[128:131], v21 offset:1024
	ds_load_b128 v[132:135], v21 offset:1280
	ds_load_b128 v[136:139], v22 offset:17920
	ds_load_b128 v[140:143], v22 offset:18176
	ds_load_b128 v[144:147], v21 offset:1536
	ds_load_b128 v[148:151], v21 offset:1792
	ds_load_b128 v[152:155], v22 offset:18432
	ds_load_b128 v[156:159], v22 offset:18688
	v_mul_lo_u32 v0, s67, v0
	ds_load_b128 v[160:163], v21 offset:2048
	ds_load_b128 v[164:167], v21 offset:2304
	ds_load_b128 v[168:171], v21 offset:2560
	ds_load_b128 v[172:175], v22 offset:18944
	s_lshl_b32 s0, s53, 6
	v_add3_u32 v9, s68, s63, v0
	v_add3_u32 v111, v0, v111, s63
	s_wait_dscnt 0x13
	v_dot4_i32_iu8 v109, v31, v13, v109 neg_lo:[1,1,0]
	v_dot4_i32_iu8 v99, v33, v13, v99 neg_lo:[1,1,0]
	v_mul_hi_u32 v2, v9, s25
	v_add_nc_u32_e32 v178, s44, v9
	v_cmp_gt_i32_e64 s3, s65, v9
	v_dot4_i32_iu8 v89, v34, v13, v89 neg_lo:[1,1,0]
	s_wait_dscnt 0x12
	v_dot4_i32_iu8 v70, v35, v13, v70 neg_lo:[1,1,0]
	v_dot4_i32_iu8 v66, v36, v13, v66 neg_lo:[1,1,0]
	v_mul_hi_u32 v3, v178, s25
	v_dot4_i32_iu8 v59, v37, v13, v59 neg_lo:[1,1,0]
	v_add_nc_u32_e32 v2, v9, v2
	v_dot4_i32_iu8 v110, v31, v12, v110 neg_lo:[1,1,0]
	v_dot4_i32_iu8 v101, v33, v12, v101 neg_lo:[1,1,0]
	;; [unrolled: 1-line block ×4, first 2 shown]
	v_lshrrev_b32_e32 v10, s57, v2
	v_add_nc_u32_e32 v3, v178, v3
	v_dot4_i32_iu8 v67, v36, v12, v67 neg_lo:[1,1,0]
	v_dot4_i32_iu8 v61, v37, v12, v61 neg_lo:[1,1,0]
	;; [unrolled: 1-line block ×3, first 2 shown]
	v_mul_hi_u32 v2, v10, s24
	v_lshrrev_b32_e32 v179, s57, v3
	v_add_nc_u32_e32 v3, v1, v30
	v_mul_lo_u32 v8, v10, s59
	v_dot4_i32_iu8 v100, v31, v17, v100 neg_lo:[1,1,0]
	v_dot4_i32_iu8 v94, v32, v16, v94 neg_lo:[1,1,0]
	v_mul_hi_u32 v5, v179, s24
	v_add_nc_u32_e32 v1, s61, v3
	v_add_nc_u32_e32 v2, v10, v2
	v_dot4_i32_iu8 v93, v32, v17, v93 neg_lo:[1,1,0]
	v_dot4_i32_iu8 v86, v33, v16, v86 neg_lo:[1,1,0]
	v_sub_nc_u32_e32 v8, v9, v8
	v_dot4_i32_iu8 v82, v33, v17, v82 neg_lo:[1,1,0]
	v_lshrrev_b32_e32 v30, s56, v2
	v_add_nc_u32_e32 v176, v179, v5
	s_clause 0x1
	buffer_load_b128 v[4:7], v3, s[40:43], null offen
	buffer_load_b128 v[0:3], v1, s[40:43], null offen
	v_dot4_i32_iu8 v79, v34, v16, v79 neg_lo:[1,1,0]
	v_dot4_i32_iu8 v74, v34, v17, v74 neg_lo:[1,1,0]
	v_mul_lo_u32 v11, v30, s58
	v_lshrrev_b32_e32 v180, s56, v176
	v_dot4_i32_iu8 v62, v35, v17, v62 neg_lo:[1,1,0]
	v_dot4_i32_iu8 v55, v36, v16, v55 neg_lo:[1,1,0]
	v_dot4_i32_iu8 v54, v36, v17, v54 neg_lo:[1,1,0]
	v_dot4_i32_iu8 v50, v37, v16, v50 neg_lo:[1,1,0]
	v_dot4_i32_iu8 v49, v37, v17, v49 neg_lo:[1,1,0]
	v_dot4_i32_iu8 v17, v38, v17, v76 neg_lo:[1,1,0]
	v_sub_nc_u32_e32 v9, v10, v11
	v_dot4_i32_iu8 v108, v31, v14, v108 neg_lo:[1,1,0]
	v_dot4_i32_iu8 v96, v33, v14, v96 neg_lo:[1,1,0]
	;; [unrolled: 1-line block ×4, first 2 shown]
	v_mad_co_u64_u32 v[10:11], null, v179, s59, v[8:9]
	v_sub_nc_u32_e32 v8, v8, v111
	v_sub_nc_u32_e32 v11, v30, v27
	v_dot4_i32_iu8 v65, v36, v14, v65 neg_lo:[1,1,0]
	v_dot4_i32_iu8 v57, v37, v14, v57 neg_lo:[1,1,0]
	v_dot4_i32_iu8 v107, v31, v15, v107 neg_lo:[1,1,0]
	v_mul_lo_u32 v8, v8, s31
	v_mad_co_u64_u32 v[176:177], null, v180, s58, v[9:10]
	v_sub_nc_u32_e32 v9, v9, v29
	v_mul_lo_u32 v27, v11, s60
	v_sub_nc_u32_e32 v11, v180, v30
	v_dot4_i32_iu8 v177, v32, v13, v105 neg_lo:[1,1,0]
	v_dot4_i32_iu8 v13, v38, v13, v83 neg_lo:[1,1,0]
	v_mul_lo_u32 v29, v9, s62
	v_sub_nc_u32_e32 v30, v179, v176
	v_mul_lo_u32 v111, v11, s60
	v_dot4_i32_iu8 v179, v32, v15, v103 neg_lo:[1,1,0]
	v_dot4_i32_iu8 v176, v32, v12, v106 neg_lo:[1,1,0]
	;; [unrolled: 1-line block ×3, first 2 shown]
	v_mul_lo_u32 v30, v30, s62
	v_dot4_i32_iu8 v53, v35, v16, v63 neg_lo:[1,1,0]
	v_dot4_i32_iu8 v16, v38, v16, v75 neg_lo:[1,1,0]
	s_wait_dscnt 0xe
	v_dot4_i32_iu8 v13, v119, v40, v13 neg_lo:[1,1,0]
	v_dot4_i32_iu8 v12, v119, v39, v12 neg_lo:[1,1,0]
	;; [unrolled: 1-line block ×23, first 2 shown]
	s_wait_dscnt 0xa
	v_dot4_i32_iu8 v13, v135, v121, v13 neg_lo:[1,1,0]
	v_dot4_i32_iu8 v12, v135, v120, v12 neg_lo:[1,1,0]
	;; [unrolled: 1-line block ×7, first 2 shown]
	s_wait_dscnt 0x6
	v_dot4_i32_iu8 v13, v151, v137, v13 neg_lo:[1,1,0]
	v_dot4_i32_iu8 v76, v114, v39, v101 neg_lo:[1,1,0]
	v_dot4_i32_iu8 v85, v115, v41, v88 neg_lo:[1,1,0]
	v_dot4_i32_iu8 v88, v112, v43, v102 neg_lo:[1,1,0]
	v_dot4_i32_iu8 v12, v151, v136, v12 neg_lo:[1,1,0]
	v_dot4_i32_iu8 v47, v112, v40, v109 neg_lo:[1,1,0]
	v_dot4_i32_iu8 v51, v112, v41, v108 neg_lo:[1,1,0]
	v_dot4_i32_iu8 v72, v113, v40, v177 neg_lo:[1,1,0]
	v_dot4_i32_iu8 v75, v113, v42, v179 neg_lo:[1,1,0]
	v_dot4_i32_iu8 v87, v115, v42, v87 neg_lo:[1,1,0]
	v_dot4_i32_iu8 v86, v114, v43, v86 neg_lo:[1,1,0]
	v_dot4_i32_iu8 v18, v135, v126, v18 neg_lo:[1,1,0]
	v_dot4_i32_iu8 v16, v151, v140, v16 neg_lo:[1,1,0]
	v_dot4_i32_iu8 v17, v151, v141, v17 neg_lo:[1,1,0]
	v_dot4_i32_iu8 v58, v112, v42, v107 neg_lo:[1,1,0]
	v_dot4_i32_iu8 v80, v114, v42, v95 neg_lo:[1,1,0]
	v_dot4_i32_iu8 v68, v116, v42, v68 neg_lo:[1,1,0]
	v_dot4_i32_iu8 v64, v117, v42, v64 neg_lo:[1,1,0]
	v_dot4_i32_iu8 v56, v118, v42, v56 neg_lo:[1,1,0]
	v_dot4_i32_iu8 v15, v119, v42, v15 neg_lo:[1,1,0]
	v_dot4_i32_iu8 v42, v117, v43, v55 neg_lo:[1,1,0]
	v_dot4_i32_iu8 v55, v130, v121, v77 neg_lo:[1,1,0]
	v_dot4_i32_iu8 v63, v113, v39, v176 neg_lo:[1,1,0]
	v_dot4_i32_iu8 v83, v115, v39, v92 neg_lo:[1,1,0]
	v_dot4_i32_iu8 v71, v116, v39, v71 neg_lo:[1,1,0]
	v_dot4_i32_iu8 v67, v117, v39, v67 neg_lo:[1,1,0]
	v_dot4_i32_iu8 v61, v118, v39, v61 neg_lo:[1,1,0]
	v_dot4_i32_iu8 v31, v112, v46, v31 neg_lo:[1,1,0]
	v_dot4_i32_iu8 v92, v113, v43, v94 neg_lo:[1,1,0]
	v_dot4_i32_iu8 v93, v113, v44, v93 neg_lo:[1,1,0]
	v_dot4_i32_iu8 v91, v113, v45, v91 neg_lo:[1,1,0]
	v_dot4_i32_iu8 v82, v114, v44, v82 neg_lo:[1,1,0]
	v_dot4_i32_iu8 v81, v114, v45, v81 neg_lo:[1,1,0]
	v_dot4_i32_iu8 v33, v114, v46, v33 neg_lo:[1,1,0]
	v_dot4_i32_iu8 v79, v115, v43, v79 neg_lo:[1,1,0]
	v_dot4_i32_iu8 v74, v115, v44, v74 neg_lo:[1,1,0]
	v_dot4_i32_iu8 v73, v115, v45, v73 neg_lo:[1,1,0]
	v_dot4_i32_iu8 v34, v115, v46, v34 neg_lo:[1,1,0]
	v_dot4_i32_iu8 v70, v116, v40, v70 neg_lo:[1,1,0]
	v_dot4_i32_iu8 v69, v116, v41, v69 neg_lo:[1,1,0]
	v_dot4_i32_iu8 v66, v117, v40, v66 neg_lo:[1,1,0]
	v_dot4_i32_iu8 v65, v117, v41, v65 neg_lo:[1,1,0]
	v_dot4_i32_iu8 v59, v118, v40, v59 neg_lo:[1,1,0]
	v_dot4_i32_iu8 v57, v118, v41, v57 neg_lo:[1,1,0]
	v_dot4_i32_iu8 v35, v116, v46, v35 neg_lo:[1,1,0]
	v_dot4_i32_iu8 v52, v117, v45, v52 neg_lo:[1,1,0]
	v_dot4_i32_iu8 v36, v117, v46, v36 neg_lo:[1,1,0]
	v_dot4_i32_iu8 v50, v118, v43, v50 neg_lo:[1,1,0]
	v_dot4_i32_iu8 v49, v118, v44, v49 neg_lo:[1,1,0]
	v_dot4_i32_iu8 v48, v118, v45, v48 neg_lo:[1,1,0]
	v_dot4_i32_iu8 v37, v118, v46, v37 neg_lo:[1,1,0]
	s_wait_dscnt 0x2
	v_dot4_i32_iu8 v95, v167, v156, v16 neg_lo:[1,1,0]
	s_wait_kmcnt 0x0
	s_add_nc_u64 s[24:25], s[4:5], s[6:7]
	v_dot4_i32_iu8 v31, v128, v127, v31 neg_lo:[1,1,0]
	v_dot4_i32_iu8 v82, v130, v125, v82 neg_lo:[1,1,0]
	;; [unrolled: 1-line block ×86, first 2 shown]
	s_wait_dscnt 0x0
	v_dot4_i32_iu8 v55, v170, v173, v55 neg_lo:[1,1,0]
	s_wait_alu 0xfffe
	s_and_b32 s25, s25, 0xffff
	s_wait_loadcnt 0x1
	v_cndmask_b32_e64 v5, 0, v5, s1
	s_wait_loadcnt 0x0
	v_cndmask_b32_e32 v3, 0, v3, vcc_lo
	v_sub_nc_u32_e32 v10, v178, v10
	v_cmp_gt_i32_e64 s4, s65, v178
	v_cndmask_b32_e64 v4, 0, v4, s1
	v_cndmask_b32_e64 v7, 0, v7, s1
	;; [unrolled: 1-line block ×3, first 2 shown]
	v_mul_lo_u32 v9, v10, s31
	v_dual_cndmask_b32 v1, 0, v1 :: v_dual_cndmask_b32 v0, 0, v0
	v_cndmask_b32_e32 v2, 0, v2, vcc_lo
	s_add_co_i32 s1, s0, s52
	s_delay_alu instid0(VALU_DEP_3) | instskip(SKIP_1) | instid1(VALU_DEP_2)
	v_mad_co_u64_u32 v[10:11], null, v27, s29, v[8:9]
	v_mul_lo_u32 v11, v29, s30
	v_mad_co_u64_u32 v[8:9], null, v111, s29, v[9:10]
	v_mul_lo_u32 v9, v30, s30
	s_delay_alu instid0(VALU_DEP_3)
	v_add3_u32 v10, v10, v11, v20
	v_dot4_i32_iu8 v20, v32, v14, v104 neg_lo:[1,1,0]
	v_dot4_i32_iu8 v14, v38, v14, v84 neg_lo:[1,1,0]
	;; [unrolled: 1-line block ×6, first 2 shown]
	v_add3_u32 v103, v8, v9, v10
	s_clause 0x1
	buffer_load_b128 v[8:11], v10, s[36:39], null offen
	buffer_load_b128 v[103:106], v103, s[36:39], null offen
	v_dot4_i32_iu8 v14, v119, v41, v14 neg_lo:[1,1,0]
	v_dot4_i32_iu8 v19, v119, v46, v19 neg_lo:[1,1,0]
	;; [unrolled: 1-line block ×8, first 2 shown]
	v_add_nc_u32_e32 v13, v29, v26
	v_dot4_i32_iu8 v38, v112, v39, v110 neg_lo:[1,1,0]
	v_dot4_i32_iu8 v14, v151, v138, v14 neg_lo:[1,1,0]
	;; [unrolled: 1-line block ×7, first 2 shown]
	v_add_nc_u32_e32 v12, v27, v28
	v_dot4_i32_iu8 v20, v113, v41, v20 neg_lo:[1,1,0]
	v_dot4_i32_iu8 v32, v113, v46, v32 neg_lo:[1,1,0]
	;; [unrolled: 1-line block ×14, first 2 shown]
	ds_load_b128 v[16:19], v22 offset:19200
	ds_load_b128 v[26:29], v21 offset:2816
	v_dot4_i32_iu8 v45, v128, v123, v58 neg_lo:[1,1,0]
	v_dot4_i32_iu8 v58, v130, v122, v78 neg_lo:[1,1,0]
	;; [unrolled: 1-line block ×4, first 2 shown]
	v_add_nc_u32_e32 v14, v30, v13
	v_cmp_le_i32_e64 s5, s51, v12
	v_cmp_gt_i32_e64 s6, s27, v12
	v_add_nc_u32_e32 v12, v111, v12
	v_dot4_i32_iu8 v38, v128, v120, v38 neg_lo:[1,1,0]
	v_dot4_i32_iu8 v46, v129, v120, v63 neg_lo:[1,1,0]
	;; [unrolled: 1-line block ×13, first 2 shown]
	v_cmp_gt_i32_e64 s7, s23, v14
	s_and_b32 s11, s5, s6
	v_cmp_le_i32_e64 s5, s51, v12
	v_cmp_gt_i32_e64 s6, s27, v12
	v_cmp_gt_i32_e64 s8, s23, v13
	v_cmp_le_i32_e64 s9, s64, v14
	v_dot4_i32_iu8 v38, v144, v136, v38 neg_lo:[1,1,0]
	v_dot4_i32_iu8 v76, v144, v140, v76 neg_lo:[1,1,0]
	v_dot4_i32_iu8 v77, v144, v141, v77 neg_lo:[1,1,0]
	v_dot4_i32_iu8 v78, v144, v142, v78 neg_lo:[1,1,0]
	v_dot4_i32_iu8 v80, v145, v140, v80 neg_lo:[1,1,0]
	v_dot4_i32_iu8 v83, v145, v141, v83 neg_lo:[1,1,0]
	v_dot4_i32_iu8 v84, v145, v142, v84 neg_lo:[1,1,0]
	v_dot4_i32_iu8 v32, v145, v143, v32 neg_lo:[1,1,0]
	v_dot4_i32_iu8 v85, v146, v140, v85 neg_lo:[1,1,0]
	v_dot4_i32_iu8 v39, v148, v140, v39 neg_lo:[1,1,0]
	v_dot4_i32_iu8 v40, v148, v141, v40 neg_lo:[1,1,0]
	v_dot4_i32_iu8 v41, v148, v142, v41 neg_lo:[1,1,0]
	v_dot4_i32_iu8 v53, v149, v141, v53 neg_lo:[1,1,0]
	v_cmp_le_i32_e64 s10, s64, v13
	s_and_b32 s4, s7, s4
	s_and_b32 s5, s5, s6
	;; [unrolled: 1-line block ×3, first 2 shown]
	s_wait_alu 0xfffe
	s_and_b32 s4, s4, s9
	v_dot4_i32_iu8 v38, v160, v152, v38 neg_lo:[1,1,0]
	v_dot4_i32_iu8 v76, v160, v156, v76 neg_lo:[1,1,0]
	;; [unrolled: 1-line block ×17, first 2 shown]
	s_and_b32 s3, s3, s10
	s_wait_alu 0xfffe
	s_and_b32 s5, s5, s4
	s_and_b32 s4, s11, s3
	s_wait_alu 0xfffe
	s_and_b32 s3, s2, s5
	v_dot4_i32_iu8 v20, v129, v122, v20 neg_lo:[1,1,0]
	v_dot4_i32_iu8 v91, v167, v155, v15 neg_lo:[1,1,0]
	;; [unrolled: 1-line block ×3, first 2 shown]
	s_wait_dscnt 0x1
	v_dot4_i32_iu8 v76, v168, v16, v76 neg_lo:[1,1,0]
	v_dot4_i32_iu8 v77, v168, v17, v77 neg_lo:[1,1,0]
	;; [unrolled: 1-line block ×16, first 2 shown]
	ds_load_b128 v[30:33], v21 offset:3072
	ds_load_b128 v[34:37], v22 offset:19456
	s_wait_dscnt 0x2
	v_dot4_i32_iu8 v102, v26, v16, v39 neg_lo:[1,1,0]
	v_dot4_i32_iu8 v92, v26, v19, v92 neg_lo:[1,1,0]
	v_dot4_i32_iu8 v42, v27, v16, v42 neg_lo:[1,1,0]
	v_dot4_i32_iu8 v53, v27, v17, v53 neg_lo:[1,1,0]
	v_dot4_i32_iu8 v52, v27, v18, v52 neg_lo:[1,1,0]
	v_dot4_i32_iu8 v93, v27, v19, v93 neg_lo:[1,1,0]
	v_dot4_i32_iu8 v50, v28, v16, v50 neg_lo:[1,1,0]
	v_dot4_i32_iu8 v49, v28, v17, v49 neg_lo:[1,1,0]
	v_dot4_i32_iu8 v48, v28, v18, v48 neg_lo:[1,1,0]
	v_dot4_i32_iu8 v94, v28, v19, v94 neg_lo:[1,1,0]
	v_dot4_i32_iu8 v95, v29, v16, v95 neg_lo:[1,1,0]
	v_dot4_i32_iu8 v96, v29, v17, v96 neg_lo:[1,1,0]
	v_dot4_i32_iu8 v86, v29, v18, v86 neg_lo:[1,1,0]
	v_dot4_i32_iu8 v87, v29, v19, v87 neg_lo:[1,1,0]
	v_dot4_i32_iu8 v43, v144, v137, v43 neg_lo:[1,1,0]
	v_dot4_i32_iu8 v44, v144, v138, v44 neg_lo:[1,1,0]
	v_dot4_i32_iu8 v45, v144, v139, v45 neg_lo:[1,1,0]
	v_dot4_i32_iu8 v46, v145, v136, v46 neg_lo:[1,1,0]
	v_dot4_i32_iu8 v47, v145, v137, v47 neg_lo:[1,1,0]
	v_dot4_i32_iu8 v20, v145, v138, v20 neg_lo:[1,1,0]
	v_dot4_i32_iu8 v51, v145, v139, v51 neg_lo:[1,1,0]
	v_dot4_i32_iu8 v54, v146, v136, v54 neg_lo:[1,1,0]
	v_dot4_i32_iu8 v58, v146, v138, v58 neg_lo:[1,1,0]
	v_dot4_i32_iu8 v60, v146, v139, v60 neg_lo:[1,1,0]
	v_dot4_i32_iu8 v62, v147, v136, v62 neg_lo:[1,1,0]
	v_dot4_i32_iu8 v63, v147, v137, v63 neg_lo:[1,1,0]
	v_dot4_i32_iu8 v72, v147, v138, v72 neg_lo:[1,1,0]
	v_dot4_i32_iu8 v75, v147, v139, v75 neg_lo:[1,1,0]
	v_dot4_i32_iu8 v43, v160, v153, v43 neg_lo:[1,1,0]
	v_dot4_i32_iu8 v44, v160, v154, v44 neg_lo:[1,1,0]
	v_dot4_i32_iu8 v45, v160, v155, v45 neg_lo:[1,1,0]
	v_dot4_i32_iu8 v46, v161, v152, v46 neg_lo:[1,1,0]
	v_dot4_i32_iu8 v47, v161, v153, v47 neg_lo:[1,1,0]
	v_dot4_i32_iu8 v20, v161, v154, v20 neg_lo:[1,1,0]
	v_dot4_i32_iu8 v51, v161, v155, v51 neg_lo:[1,1,0]
	v_dot4_i32_iu8 v54, v162, v152, v54 neg_lo:[1,1,0]
	v_dot4_i32_iu8 v58, v162, v154, v58 neg_lo:[1,1,0]
	v_dot4_i32_iu8 v60, v162, v155, v60 neg_lo:[1,1,0]
	v_dot4_i32_iu8 v62, v163, v152, v62 neg_lo:[1,1,0]
	v_dot4_i32_iu8 v63, v163, v153, v63 neg_lo:[1,1,0]
	v_dot4_i32_iu8 v72, v163, v154, v72 neg_lo:[1,1,0]
	v_dot4_i32_iu8 v75, v163, v155, v75 neg_lo:[1,1,0]
	v_dot4_i32_iu8 v43, v168, v173, v43 neg_lo:[1,1,0]
	v_dot4_i32_iu8 v44, v168, v174, v44 neg_lo:[1,1,0]
	v_dot4_i32_iu8 v45, v168, v175, v45 neg_lo:[1,1,0]
	v_dot4_i32_iu8 v46, v169, v172, v46 neg_lo:[1,1,0]
	v_dot4_i32_iu8 v47, v169, v173, v47 neg_lo:[1,1,0]
	v_dot4_i32_iu8 v20, v169, v174, v20 neg_lo:[1,1,0]
	v_dot4_i32_iu8 v51, v169, v175, v51 neg_lo:[1,1,0]
	v_dot4_i32_iu8 v54, v170, v172, v54 neg_lo:[1,1,0]
	v_dot4_i32_iu8 v58, v170, v174, v58 neg_lo:[1,1,0]
	v_dot4_i32_iu8 v60, v170, v175, v60 neg_lo:[1,1,0]
	v_dot4_i32_iu8 v62, v171, v172, v62 neg_lo:[1,1,0]
	v_dot4_i32_iu8 v63, v171, v173, v63 neg_lo:[1,1,0]
	v_dot4_i32_iu8 v72, v171, v174, v72 neg_lo:[1,1,0]
	v_dot4_i32_iu8 v75, v171, v175, v75 neg_lo:[1,1,0]
	v_dot4_i32_iu8 v71, v26, v172, v71 neg_lo:[1,1,0]
	v_dot4_i32_iu8 v70, v26, v173, v70 neg_lo:[1,1,0]
	v_dot4_i32_iu8 v69, v26, v174, v69 neg_lo:[1,1,0]
	v_dot4_i32_iu8 v68, v26, v175, v68 neg_lo:[1,1,0]
	v_dot4_i32_iu8 v67, v27, v172, v67 neg_lo:[1,1,0]
	v_dot4_i32_iu8 v66, v27, v173, v66 neg_lo:[1,1,0]
	v_dot4_i32_iu8 v65, v27, v174, v65 neg_lo:[1,1,0]
	v_dot4_i32_iu8 v64, v27, v175, v64 neg_lo:[1,1,0]
	v_dot4_i32_iu8 v61, v28, v172, v61 neg_lo:[1,1,0]
	v_dot4_i32_iu8 v59, v28, v173, v59 neg_lo:[1,1,0]
	v_dot4_i32_iu8 v57, v28, v174, v57 neg_lo:[1,1,0]
	v_dot4_i32_iu8 v56, v28, v175, v56 neg_lo:[1,1,0]
	v_dot4_i32_iu8 v88, v29, v172, v88 neg_lo:[1,1,0]
	v_dot4_i32_iu8 v89, v29, v173, v89 neg_lo:[1,1,0]
	v_dot4_i32_iu8 v90, v29, v174, v90 neg_lo:[1,1,0]
	v_dot4_i32_iu8 v91, v29, v175, v91 neg_lo:[1,1,0]
	s_and_b32 s2, s2, s4
	s_mov_b32 s27, 0x31004000
	s_wait_alu 0xfffe
	s_mov_b32 s23, s27
	s_wait_loadcnt 0x1
	v_cndmask_b32_e64 v9, 0, v9, s2
	s_wait_loadcnt 0x0
	v_cndmask_b32_e64 v14, 0, v104, s3
	v_cndmask_b32_e64 v15, 0, v103, s3
	v_dot4_i32_iu8 v103, v26, v17, v40 neg_lo:[1,1,0]
	v_dot4_i32_iu8 v104, v26, v18, v41 neg_lo:[1,1,0]
	ds_load_b128 v[38:41], v22 offset:19712
	ds_load_b128 v[16:19], v21 offset:3328
	;; [unrolled: 1-line block ×3, first 2 shown]
	s_wait_dscnt 0x3
	v_dot4_i32_iu8 v97, v30, v34, v97 neg_lo:[1,1,0]
	v_dot4_i32_iu8 v43, v30, v35, v43 neg_lo:[1,1,0]
	v_dot4_i32_iu8 v44, v30, v36, v44 neg_lo:[1,1,0]
	v_dot4_i32_iu8 v45, v30, v37, v45 neg_lo:[1,1,0]
	v_dot4_i32_iu8 v46, v31, v34, v46 neg_lo:[1,1,0]
	v_dot4_i32_iu8 v47, v31, v35, v47 neg_lo:[1,1,0]
	v_dot4_i32_iu8 v20, v31, v36, v20 neg_lo:[1,1,0]
	v_dot4_i32_iu8 v51, v31, v37, v51 neg_lo:[1,1,0]
	v_dot4_i32_iu8 v54, v32, v34, v54 neg_lo:[1,1,0]
	v_dot4_i32_iu8 v55, v32, v35, v55 neg_lo:[1,1,0]
	v_dot4_i32_iu8 v58, v32, v36, v58 neg_lo:[1,1,0]
	v_dot4_i32_iu8 v60, v32, v37, v60 neg_lo:[1,1,0]
	v_dot4_i32_iu8 v62, v33, v34, v62 neg_lo:[1,1,0]
	v_dot4_i32_iu8 v63, v33, v35, v63 neg_lo:[1,1,0]
	v_dot4_i32_iu8 v72, v33, v36, v72 neg_lo:[1,1,0]
	v_dot4_i32_iu8 v75, v33, v37, v75 neg_lo:[1,1,0]
	v_cndmask_b32_e64 v12, 0, v106, s3
	s_wait_dscnt 0x2
	v_dot4_i32_iu8 v76, v30, v38, v76 neg_lo:[1,1,0]
	v_dot4_i32_iu8 v77, v30, v39, v77 neg_lo:[1,1,0]
	;; [unrolled: 1-line block ×16, first 2 shown]
	s_wait_dscnt 0x1
	v_dot4_i32_iu8 v71, v16, v34, v71 neg_lo:[1,1,0]
	v_dot4_i32_iu8 v70, v16, v35, v70 neg_lo:[1,1,0]
	;; [unrolled: 1-line block ×15, first 2 shown]
	ds_load_b128 v[30:33], v22 offset:19968
	v_dot4_i32_iu8 v91, v19, v37, v91 neg_lo:[1,1,0]
	v_dot4_i32_iu8 v102, v16, v38, v102 neg_lo:[1,1,0]
	;; [unrolled: 1-line block ×15, first 2 shown]
	ds_load_b128 v[34:37], v22 offset:20224
	v_dot4_i32_iu8 v86, v19, v40, v86 neg_lo:[1,1,0]
	v_dot4_i32_iu8 v87, v19, v41, v87 neg_lo:[1,1,0]
	ds_load_b128 v[16:19], v21 offset:3840
	s_wait_dscnt 0x2
	v_dot4_i32_iu8 v97, v26, v30, v97 neg_lo:[1,1,0]
	v_dot4_i32_iu8 v43, v26, v31, v43 neg_lo:[1,1,0]
	;; [unrolled: 1-line block ×16, first 2 shown]
	s_wait_dscnt 0x1
	v_dot4_i32_iu8 v76, v26, v34, v76 neg_lo:[1,1,0]
	v_dot4_i32_iu8 v77, v26, v35, v77 neg_lo:[1,1,0]
	;; [unrolled: 1-line block ×16, first 2 shown]
	ds_load_b128 v[26:29], v21 offset:4096
	s_wait_dscnt 0x1
	v_dot4_i32_iu8 v71, v16, v30, v71 neg_lo:[1,1,0]
	v_dot4_i32_iu8 v70, v16, v31, v70 neg_lo:[1,1,0]
	;; [unrolled: 1-line block ×15, first 2 shown]
	ds_load_b128 v[38:41], v22 offset:20480
	v_dot4_i32_iu8 v91, v19, v33, v91 neg_lo:[1,1,0]
	v_dot4_i32_iu8 v102, v16, v34, v102 neg_lo:[1,1,0]
	;; [unrolled: 1-line block ×15, first 2 shown]
	ds_load_b128 v[30:33], v22 offset:20736
	v_dot4_i32_iu8 v86, v19, v36, v86 neg_lo:[1,1,0]
	v_dot4_i32_iu8 v87, v19, v37, v87 neg_lo:[1,1,0]
	ds_load_b128 v[16:19], v21 offset:4352
	s_wait_dscnt 0x2
	v_dot4_i32_iu8 v97, v26, v38, v97 neg_lo:[1,1,0]
	v_dot4_i32_iu8 v43, v26, v39, v43 neg_lo:[1,1,0]
	;; [unrolled: 1-line block ×16, first 2 shown]
	s_wait_dscnt 0x1
	v_dot4_i32_iu8 v76, v26, v30, v76 neg_lo:[1,1,0]
	v_dot4_i32_iu8 v77, v26, v31, v77 neg_lo:[1,1,0]
	;; [unrolled: 1-line block ×16, first 2 shown]
	ds_load_b128 v[26:29], v21 offset:4608
	s_wait_dscnt 0x1
	v_dot4_i32_iu8 v71, v16, v38, v71 neg_lo:[1,1,0]
	v_dot4_i32_iu8 v70, v16, v39, v70 neg_lo:[1,1,0]
	;; [unrolled: 1-line block ×15, first 2 shown]
	ds_load_b128 v[34:37], v22 offset:20992
	v_dot4_i32_iu8 v91, v19, v41, v91 neg_lo:[1,1,0]
	v_dot4_i32_iu8 v102, v16, v30, v102 neg_lo:[1,1,0]
	v_dot4_i32_iu8 v103, v16, v31, v103 neg_lo:[1,1,0]
	v_dot4_i32_iu8 v104, v16, v32, v104 neg_lo:[1,1,0]
	v_dot4_i32_iu8 v92, v16, v33, v92 neg_lo:[1,1,0]
	v_dot4_i32_iu8 v42, v17, v30, v42 neg_lo:[1,1,0]
	v_dot4_i32_iu8 v53, v17, v31, v53 neg_lo:[1,1,0]
	v_dot4_i32_iu8 v52, v17, v32, v52 neg_lo:[1,1,0]
	v_dot4_i32_iu8 v93, v17, v33, v93 neg_lo:[1,1,0]
	v_dot4_i32_iu8 v50, v18, v30, v50 neg_lo:[1,1,0]
	v_dot4_i32_iu8 v49, v18, v31, v49 neg_lo:[1,1,0]
	v_dot4_i32_iu8 v48, v18, v32, v48 neg_lo:[1,1,0]
	v_dot4_i32_iu8 v94, v18, v33, v94 neg_lo:[1,1,0]
	v_dot4_i32_iu8 v95, v19, v30, v95 neg_lo:[1,1,0]
	v_dot4_i32_iu8 v96, v19, v31, v96 neg_lo:[1,1,0]
	ds_load_b128 v[38:41], v22 offset:21248
	v_dot4_i32_iu8 v86, v19, v32, v86 neg_lo:[1,1,0]
	v_dot4_i32_iu8 v87, v19, v33, v87 neg_lo:[1,1,0]
	ds_load_b128 v[16:19], v21 offset:4864
	s_wait_dscnt 0x2
	v_dot4_i32_iu8 v97, v26, v34, v97 neg_lo:[1,1,0]
	v_dot4_i32_iu8 v43, v26, v35, v43 neg_lo:[1,1,0]
	;; [unrolled: 1-line block ×16, first 2 shown]
	s_wait_dscnt 0x1
	v_dot4_i32_iu8 v76, v26, v38, v76 neg_lo:[1,1,0]
	v_dot4_i32_iu8 v77, v26, v39, v77 neg_lo:[1,1,0]
	;; [unrolled: 1-line block ×16, first 2 shown]
	ds_load_b128 v[26:29], v21 offset:5120
	s_wait_dscnt 0x1
	v_dot4_i32_iu8 v71, v16, v34, v71 neg_lo:[1,1,0]
	v_dot4_i32_iu8 v70, v16, v35, v70 neg_lo:[1,1,0]
	;; [unrolled: 1-line block ×15, first 2 shown]
	ds_load_b128 v[30:33], v22 offset:21504
	v_dot4_i32_iu8 v91, v19, v37, v91 neg_lo:[1,1,0]
	v_dot4_i32_iu8 v102, v16, v38, v102 neg_lo:[1,1,0]
	v_dot4_i32_iu8 v103, v16, v39, v103 neg_lo:[1,1,0]
	v_dot4_i32_iu8 v104, v16, v40, v104 neg_lo:[1,1,0]
	v_dot4_i32_iu8 v92, v16, v41, v92 neg_lo:[1,1,0]
	v_dot4_i32_iu8 v42, v17, v38, v42 neg_lo:[1,1,0]
	v_dot4_i32_iu8 v53, v17, v39, v53 neg_lo:[1,1,0]
	v_dot4_i32_iu8 v52, v17, v40, v52 neg_lo:[1,1,0]
	v_dot4_i32_iu8 v93, v17, v41, v93 neg_lo:[1,1,0]
	v_dot4_i32_iu8 v50, v18, v38, v50 neg_lo:[1,1,0]
	v_dot4_i32_iu8 v49, v18, v39, v49 neg_lo:[1,1,0]
	v_dot4_i32_iu8 v48, v18, v40, v48 neg_lo:[1,1,0]
	v_dot4_i32_iu8 v94, v18, v41, v94 neg_lo:[1,1,0]
	v_dot4_i32_iu8 v95, v19, v38, v95 neg_lo:[1,1,0]
	v_dot4_i32_iu8 v96, v19, v39, v96 neg_lo:[1,1,0]
	ds_load_b128 v[34:37], v22 offset:21760
	v_dot4_i32_iu8 v86, v19, v40, v86 neg_lo:[1,1,0]
	v_dot4_i32_iu8 v87, v19, v41, v87 neg_lo:[1,1,0]
	ds_load_b128 v[16:19], v21 offset:5376
	s_wait_dscnt 0x2
	v_dot4_i32_iu8 v97, v26, v30, v97 neg_lo:[1,1,0]
	v_dot4_i32_iu8 v43, v26, v31, v43 neg_lo:[1,1,0]
	;; [unrolled: 1-line block ×16, first 2 shown]
	s_wait_dscnt 0x1
	v_dot4_i32_iu8 v76, v26, v34, v76 neg_lo:[1,1,0]
	v_dot4_i32_iu8 v77, v26, v35, v77 neg_lo:[1,1,0]
	;; [unrolled: 1-line block ×16, first 2 shown]
	ds_load_b128 v[26:29], v21 offset:5632
	s_wait_dscnt 0x1
	v_dot4_i32_iu8 v71, v16, v30, v71 neg_lo:[1,1,0]
	v_dot4_i32_iu8 v70, v16, v31, v70 neg_lo:[1,1,0]
	;; [unrolled: 1-line block ×15, first 2 shown]
	ds_load_b128 v[38:41], v22 offset:22016
	v_dot4_i32_iu8 v91, v19, v33, v91 neg_lo:[1,1,0]
	v_dot4_i32_iu8 v102, v16, v34, v102 neg_lo:[1,1,0]
	;; [unrolled: 1-line block ×15, first 2 shown]
	ds_load_b128 v[30:33], v22 offset:22272
	v_dot4_i32_iu8 v86, v19, v36, v86 neg_lo:[1,1,0]
	v_dot4_i32_iu8 v87, v19, v37, v87 neg_lo:[1,1,0]
	ds_load_b128 v[16:19], v21 offset:5888
	s_wait_dscnt 0x2
	v_dot4_i32_iu8 v97, v26, v38, v97 neg_lo:[1,1,0]
	v_dot4_i32_iu8 v43, v26, v39, v43 neg_lo:[1,1,0]
	;; [unrolled: 1-line block ×16, first 2 shown]
	s_wait_dscnt 0x1
	v_dot4_i32_iu8 v76, v26, v30, v76 neg_lo:[1,1,0]
	v_dot4_i32_iu8 v77, v26, v31, v77 neg_lo:[1,1,0]
	;; [unrolled: 1-line block ×16, first 2 shown]
	ds_load_b128 v[26:29], v21 offset:6144
	s_wait_dscnt 0x1
	v_dot4_i32_iu8 v71, v16, v38, v71 neg_lo:[1,1,0]
	v_dot4_i32_iu8 v70, v16, v39, v70 neg_lo:[1,1,0]
	v_dot4_i32_iu8 v69, v16, v40, v69 neg_lo:[1,1,0]
	v_dot4_i32_iu8 v68, v16, v41, v68 neg_lo:[1,1,0]
	v_dot4_i32_iu8 v67, v17, v38, v67 neg_lo:[1,1,0]
	v_dot4_i32_iu8 v66, v17, v39, v66 neg_lo:[1,1,0]
	v_dot4_i32_iu8 v65, v17, v40, v65 neg_lo:[1,1,0]
	v_dot4_i32_iu8 v64, v17, v41, v64 neg_lo:[1,1,0]
	v_dot4_i32_iu8 v61, v18, v38, v61 neg_lo:[1,1,0]
	v_dot4_i32_iu8 v59, v18, v39, v59 neg_lo:[1,1,0]
	v_dot4_i32_iu8 v57, v18, v40, v57 neg_lo:[1,1,0]
	v_dot4_i32_iu8 v56, v18, v41, v56 neg_lo:[1,1,0]
	v_dot4_i32_iu8 v88, v19, v38, v88 neg_lo:[1,1,0]
	v_dot4_i32_iu8 v89, v19, v39, v89 neg_lo:[1,1,0]
	v_dot4_i32_iu8 v90, v19, v40, v90 neg_lo:[1,1,0]
	ds_load_b128 v[34:37], v22 offset:22528
	v_dot4_i32_iu8 v91, v19, v41, v91 neg_lo:[1,1,0]
	v_dot4_i32_iu8 v102, v16, v30, v102 neg_lo:[1,1,0]
	;; [unrolled: 1-line block ×15, first 2 shown]
	ds_load_b128 v[38:41], v22 offset:22784
	v_dot4_i32_iu8 v86, v19, v32, v86 neg_lo:[1,1,0]
	v_dot4_i32_iu8 v87, v19, v33, v87 neg_lo:[1,1,0]
	ds_load_b128 v[16:19], v21 offset:6400
	s_wait_dscnt 0x2
	v_dot4_i32_iu8 v97, v26, v34, v97 neg_lo:[1,1,0]
	v_dot4_i32_iu8 v43, v26, v35, v43 neg_lo:[1,1,0]
	;; [unrolled: 1-line block ×16, first 2 shown]
	s_wait_dscnt 0x1
	v_dot4_i32_iu8 v76, v26, v38, v76 neg_lo:[1,1,0]
	v_dot4_i32_iu8 v77, v26, v39, v77 neg_lo:[1,1,0]
	;; [unrolled: 1-line block ×16, first 2 shown]
	ds_load_b128 v[26:29], v21 offset:6656
	s_wait_dscnt 0x1
	v_dot4_i32_iu8 v71, v16, v34, v71 neg_lo:[1,1,0]
	v_dot4_i32_iu8 v70, v16, v35, v70 neg_lo:[1,1,0]
	;; [unrolled: 1-line block ×15, first 2 shown]
	ds_load_b128 v[30:33], v22 offset:23040
	v_dot4_i32_iu8 v91, v19, v37, v91 neg_lo:[1,1,0]
	v_dot4_i32_iu8 v102, v16, v38, v102 neg_lo:[1,1,0]
	;; [unrolled: 1-line block ×15, first 2 shown]
	ds_load_b128 v[34:37], v22 offset:23296
	v_dot4_i32_iu8 v86, v19, v40, v86 neg_lo:[1,1,0]
	v_dot4_i32_iu8 v87, v19, v41, v87 neg_lo:[1,1,0]
	ds_load_b128 v[16:19], v21 offset:6912
	s_wait_dscnt 0x2
	v_dot4_i32_iu8 v97, v26, v30, v97 neg_lo:[1,1,0]
	v_dot4_i32_iu8 v43, v26, v31, v43 neg_lo:[1,1,0]
	;; [unrolled: 1-line block ×16, first 2 shown]
	s_wait_dscnt 0x1
	v_dot4_i32_iu8 v76, v26, v34, v76 neg_lo:[1,1,0]
	v_dot4_i32_iu8 v77, v26, v35, v77 neg_lo:[1,1,0]
	;; [unrolled: 1-line block ×16, first 2 shown]
	ds_load_b128 v[26:29], v21 offset:7168
	s_wait_dscnt 0x1
	v_dot4_i32_iu8 v71, v16, v30, v71 neg_lo:[1,1,0]
	v_dot4_i32_iu8 v70, v16, v31, v70 neg_lo:[1,1,0]
	;; [unrolled: 1-line block ×15, first 2 shown]
	ds_load_b128 v[38:41], v22 offset:23552
	v_dot4_i32_iu8 v91, v19, v33, v91 neg_lo:[1,1,0]
	v_dot4_i32_iu8 v102, v16, v34, v102 neg_lo:[1,1,0]
	;; [unrolled: 1-line block ×15, first 2 shown]
	ds_load_b128 v[30:33], v22 offset:23808
	v_dot4_i32_iu8 v86, v19, v36, v86 neg_lo:[1,1,0]
	v_dot4_i32_iu8 v87, v19, v37, v87 neg_lo:[1,1,0]
	ds_load_b128 v[16:19], v21 offset:7424
	v_cndmask_b32_e64 v13, 0, v105, s3
	s_wait_dscnt 0x2
	v_dot4_i32_iu8 v97, v26, v38, v97 neg_lo:[1,1,0]
	v_dot4_i32_iu8 v43, v26, v39, v43 neg_lo:[1,1,0]
	;; [unrolled: 1-line block ×16, first 2 shown]
	s_wait_dscnt 0x1
	v_dot4_i32_iu8 v76, v26, v30, v76 neg_lo:[1,1,0]
	v_dot4_i32_iu8 v77, v26, v31, v77 neg_lo:[1,1,0]
	;; [unrolled: 1-line block ×16, first 2 shown]
	ds_load_b128 v[26:29], v21 offset:7680
	s_wait_dscnt 0x1
	v_dot4_i32_iu8 v71, v16, v38, v71 neg_lo:[1,1,0]
	v_dot4_i32_iu8 v70, v16, v39, v70 neg_lo:[1,1,0]
	;; [unrolled: 1-line block ×15, first 2 shown]
	ds_load_b128 v[34:37], v22 offset:24064
	v_dot4_i32_iu8 v91, v19, v41, v91 neg_lo:[1,1,0]
	v_dot4_i32_iu8 v102, v16, v30, v102 neg_lo:[1,1,0]
	;; [unrolled: 1-line block ×15, first 2 shown]
	ds_load_b128 v[38:41], v22 offset:24320
	v_dot4_i32_iu8 v32, v19, v32, v86 neg_lo:[1,1,0]
	v_dot4_i32_iu8 v33, v19, v33, v87 neg_lo:[1,1,0]
	ds_load_b128 v[16:19], v21 offset:7936
	v_cndmask_b32_e64 v8, 0, v8, s2
	v_cndmask_b32_e64 v11, 0, v11, s2
	;; [unrolled: 1-line block ×3, first 2 shown]
	ds_store_2addr_stride64_b32 v25, v8, v9 offset0:32 offset1:34
	ds_store_2addr_stride64_b32 v25, v10, v11 offset0:36 offset1:38
	;; [unrolled: 1-line block ×8, first 2 shown]
	s_wait_dscnt 0x0
	s_barrier_signal -1
	s_barrier_wait -1
	ds_load_b128 v[0:3], v21 offset:8192
	ds_load_b128 v[4:7], v22 offset:24576
	ds_load_b128 v[8:11], v22 offset:24832
	ds_load_b128 v[12:15], v21 offset:8448
	v_dot4_i32_iu8 v86, v26, v34, v97 neg_lo:[1,1,0]
	v_dot4_i32_iu8 v43, v26, v35, v43 neg_lo:[1,1,0]
	;; [unrolled: 1-line block ×64, first 2 shown]
	s_wait_dscnt 0x2
	v_dot4_i32_iu8 v38, v0, v4, v86 neg_lo:[1,1,0]
	v_dot4_i32_iu8 v39, v0, v5, v43 neg_lo:[1,1,0]
	;; [unrolled: 1-line block ×16, first 2 shown]
	ds_load_b128 v[16:19], v22 offset:25088
	s_wait_dscnt 0x2
	v_dot4_i32_iu8 v63, v0, v8, v76 neg_lo:[1,1,0]
	v_dot4_i32_iu8 v72, v0, v9, v77 neg_lo:[1,1,0]
	;; [unrolled: 1-line block ×16, first 2 shown]
	ds_load_b128 v[0:3], v21 offset:8704
	s_wait_dscnt 0x2
	v_dot4_i32_iu8 v71, v12, v4, v71 neg_lo:[1,1,0]
	v_dot4_i32_iu8 v70, v12, v5, v70 neg_lo:[1,1,0]
	;; [unrolled: 1-line block ×30, first 2 shown]
	ds_load_b128 v[4:7], v22 offset:25344
	v_dot4_i32_iu8 v32, v15, v10, v32 neg_lo:[1,1,0]
	v_dot4_i32_iu8 v33, v15, v11, v33 neg_lo:[1,1,0]
	ds_load_b128 v[8:11], v21 offset:8960
	s_wait_dscnt 0x2
	v_dot4_i32_iu8 v38, v0, v16, v38 neg_lo:[1,1,0]
	v_dot4_i32_iu8 v39, v0, v17, v39 neg_lo:[1,1,0]
	v_dot4_i32_iu8 v40, v0, v18, v40 neg_lo:[1,1,0]
	v_dot4_i32_iu8 v41, v0, v19, v41 neg_lo:[1,1,0]
	v_dot4_i32_iu8 v43, v1, v16, v43 neg_lo:[1,1,0]
	v_dot4_i32_iu8 v44, v1, v17, v44 neg_lo:[1,1,0]
	v_dot4_i32_iu8 v20, v1, v18, v20 neg_lo:[1,1,0]
	v_dot4_i32_iu8 v45, v1, v19, v45 neg_lo:[1,1,0]
	v_dot4_i32_iu8 v46, v2, v16, v46 neg_lo:[1,1,0]
	v_dot4_i32_iu8 v47, v2, v17, v47 neg_lo:[1,1,0]
	v_dot4_i32_iu8 v51, v2, v18, v51 neg_lo:[1,1,0]
	v_dot4_i32_iu8 v54, v2, v19, v54 neg_lo:[1,1,0]
	v_dot4_i32_iu8 v55, v3, v16, v55 neg_lo:[1,1,0]
	v_dot4_i32_iu8 v58, v3, v17, v58 neg_lo:[1,1,0]
	v_dot4_i32_iu8 v60, v3, v18, v60 neg_lo:[1,1,0]
	v_dot4_i32_iu8 v62, v3, v19, v62 neg_lo:[1,1,0]
	ds_load_b128 v[12:15], v22 offset:25600
	s_wait_dscnt 0x2
	v_dot4_i32_iu8 v63, v0, v4, v63 neg_lo:[1,1,0]
	v_dot4_i32_iu8 v72, v0, v5, v72 neg_lo:[1,1,0]
	v_dot4_i32_iu8 v75, v0, v6, v75 neg_lo:[1,1,0]
	v_dot4_i32_iu8 v26, v0, v7, v26 neg_lo:[1,1,0]
	v_dot4_i32_iu8 v76, v1, v4, v76 neg_lo:[1,1,0]
	v_dot4_i32_iu8 v77, v1, v5, v77 neg_lo:[1,1,0]
	v_dot4_i32_iu8 v78, v1, v6, v78 neg_lo:[1,1,0]
	v_dot4_i32_iu8 v27, v1, v7, v27 neg_lo:[1,1,0]
	v_dot4_i32_iu8 v80, v2, v4, v80 neg_lo:[1,1,0]
	v_dot4_i32_iu8 v82, v2, v5, v82 neg_lo:[1,1,0]
	v_dot4_i32_iu8 v81, v2, v6, v81 neg_lo:[1,1,0]
	v_dot4_i32_iu8 v28, v2, v7, v28 neg_lo:[1,1,0]
	v_dot4_i32_iu8 v79, v3, v4, v79 neg_lo:[1,1,0]
	v_dot4_i32_iu8 v74, v3, v5, v74 neg_lo:[1,1,0]
	;; [unrolled: 18-line block ×3, first 2 shown]
	v_dot4_i32_iu8 v36, v11, v18, v36 neg_lo:[1,1,0]
	v_dot4_i32_iu8 v25, v11, v19, v25 neg_lo:[1,1,0]
	;; [unrolled: 1-line block ×16, first 2 shown]
	ds_load_b128 v[16:19], v22 offset:25856
	v_dot4_i32_iu8 v32, v11, v6, v32 neg_lo:[1,1,0]
	v_dot4_i32_iu8 v33, v11, v7, v33 neg_lo:[1,1,0]
	ds_load_b128 v[4:7], v21 offset:9472
	s_wait_dscnt 0x2
	v_dot4_i32_iu8 v38, v0, v12, v38 neg_lo:[1,1,0]
	v_dot4_i32_iu8 v39, v0, v13, v39 neg_lo:[1,1,0]
	v_dot4_i32_iu8 v40, v0, v14, v40 neg_lo:[1,1,0]
	v_dot4_i32_iu8 v41, v0, v15, v41 neg_lo:[1,1,0]
	v_dot4_i32_iu8 v43, v1, v12, v43 neg_lo:[1,1,0]
	v_dot4_i32_iu8 v44, v1, v13, v44 neg_lo:[1,1,0]
	v_dot4_i32_iu8 v20, v1, v14, v20 neg_lo:[1,1,0]
	v_dot4_i32_iu8 v45, v1, v15, v45 neg_lo:[1,1,0]
	v_dot4_i32_iu8 v46, v2, v12, v46 neg_lo:[1,1,0]
	v_dot4_i32_iu8 v47, v2, v13, v47 neg_lo:[1,1,0]
	v_dot4_i32_iu8 v51, v2, v14, v51 neg_lo:[1,1,0]
	v_dot4_i32_iu8 v54, v2, v15, v54 neg_lo:[1,1,0]
	v_dot4_i32_iu8 v55, v3, v12, v55 neg_lo:[1,1,0]
	v_dot4_i32_iu8 v58, v3, v13, v58 neg_lo:[1,1,0]
	v_dot4_i32_iu8 v60, v3, v14, v60 neg_lo:[1,1,0]
	v_dot4_i32_iu8 v62, v3, v15, v62 neg_lo:[1,1,0]
	ds_load_b128 v[8:11], v22 offset:26112
	s_wait_dscnt 0x2
	v_dot4_i32_iu8 v63, v0, v16, v63 neg_lo:[1,1,0]
	v_dot4_i32_iu8 v72, v0, v17, v72 neg_lo:[1,1,0]
	v_dot4_i32_iu8 v75, v0, v18, v75 neg_lo:[1,1,0]
	v_dot4_i32_iu8 v26, v0, v19, v26 neg_lo:[1,1,0]
	v_dot4_i32_iu8 v76, v1, v16, v76 neg_lo:[1,1,0]
	v_dot4_i32_iu8 v77, v1, v17, v77 neg_lo:[1,1,0]
	v_dot4_i32_iu8 v78, v1, v18, v78 neg_lo:[1,1,0]
	v_dot4_i32_iu8 v27, v1, v19, v27 neg_lo:[1,1,0]
	v_dot4_i32_iu8 v80, v2, v16, v80 neg_lo:[1,1,0]
	v_dot4_i32_iu8 v82, v2, v17, v82 neg_lo:[1,1,0]
	v_dot4_i32_iu8 v81, v2, v18, v81 neg_lo:[1,1,0]
	v_dot4_i32_iu8 v28, v2, v19, v28 neg_lo:[1,1,0]
	v_dot4_i32_iu8 v79, v3, v16, v79 neg_lo:[1,1,0]
	v_dot4_i32_iu8 v74, v3, v17, v74 neg_lo:[1,1,0]
	;; [unrolled: 18-line block ×3, first 2 shown]
	v_dot4_i32_iu8 v36, v7, v14, v36 neg_lo:[1,1,0]
	v_dot4_i32_iu8 v25, v7, v15, v25 neg_lo:[1,1,0]
	;; [unrolled: 1-line block ×16, first 2 shown]
	ds_load_b128 v[12:15], v22 offset:26368
	v_dot4_i32_iu8 v32, v7, v18, v32 neg_lo:[1,1,0]
	v_dot4_i32_iu8 v33, v7, v19, v33 neg_lo:[1,1,0]
	ds_load_b128 v[4:7], v21 offset:9984
	s_wait_dscnt 0x2
	v_dot4_i32_iu8 v38, v0, v8, v38 neg_lo:[1,1,0]
	v_dot4_i32_iu8 v39, v0, v9, v39 neg_lo:[1,1,0]
	v_dot4_i32_iu8 v40, v0, v10, v40 neg_lo:[1,1,0]
	v_dot4_i32_iu8 v41, v0, v11, v41 neg_lo:[1,1,0]
	v_dot4_i32_iu8 v43, v1, v8, v43 neg_lo:[1,1,0]
	v_dot4_i32_iu8 v44, v1, v9, v44 neg_lo:[1,1,0]
	v_dot4_i32_iu8 v20, v1, v10, v20 neg_lo:[1,1,0]
	v_dot4_i32_iu8 v45, v1, v11, v45 neg_lo:[1,1,0]
	v_dot4_i32_iu8 v46, v2, v8, v46 neg_lo:[1,1,0]
	v_dot4_i32_iu8 v47, v2, v9, v47 neg_lo:[1,1,0]
	v_dot4_i32_iu8 v51, v2, v10, v51 neg_lo:[1,1,0]
	v_dot4_i32_iu8 v54, v2, v11, v54 neg_lo:[1,1,0]
	v_dot4_i32_iu8 v55, v3, v8, v55 neg_lo:[1,1,0]
	v_dot4_i32_iu8 v58, v3, v9, v58 neg_lo:[1,1,0]
	v_dot4_i32_iu8 v60, v3, v10, v60 neg_lo:[1,1,0]
	v_dot4_i32_iu8 v62, v3, v11, v62 neg_lo:[1,1,0]
	ds_load_b128 v[16:19], v22 offset:26624
	s_wait_dscnt 0x2
	v_dot4_i32_iu8 v63, v0, v12, v63 neg_lo:[1,1,0]
	v_dot4_i32_iu8 v72, v0, v13, v72 neg_lo:[1,1,0]
	v_dot4_i32_iu8 v75, v0, v14, v75 neg_lo:[1,1,0]
	v_dot4_i32_iu8 v26, v0, v15, v26 neg_lo:[1,1,0]
	v_dot4_i32_iu8 v76, v1, v12, v76 neg_lo:[1,1,0]
	v_dot4_i32_iu8 v77, v1, v13, v77 neg_lo:[1,1,0]
	v_dot4_i32_iu8 v78, v1, v14, v78 neg_lo:[1,1,0]
	v_dot4_i32_iu8 v27, v1, v15, v27 neg_lo:[1,1,0]
	v_dot4_i32_iu8 v80, v2, v12, v80 neg_lo:[1,1,0]
	v_dot4_i32_iu8 v82, v2, v13, v82 neg_lo:[1,1,0]
	v_dot4_i32_iu8 v81, v2, v14, v81 neg_lo:[1,1,0]
	v_dot4_i32_iu8 v28, v2, v15, v28 neg_lo:[1,1,0]
	v_dot4_i32_iu8 v79, v3, v12, v79 neg_lo:[1,1,0]
	v_dot4_i32_iu8 v74, v3, v13, v74 neg_lo:[1,1,0]
	v_dot4_i32_iu8 v73, v3, v14, v73 neg_lo:[1,1,0]
	v_dot4_i32_iu8 v29, v3, v15, v29 neg_lo:[1,1,0]
	ds_load_b128 v[0:3], v21 offset:10240
	s_wait_dscnt 0x2
	v_dot4_i32_iu8 v71, v4, v8, v71 neg_lo:[1,1,0]
	v_dot4_i32_iu8 v70, v4, v9, v70 neg_lo:[1,1,0]
	v_dot4_i32_iu8 v69, v4, v10, v69 neg_lo:[1,1,0]
	v_dot4_i32_iu8 v68, v4, v11, v68 neg_lo:[1,1,0]
	v_dot4_i32_iu8 v67, v5, v8, v67 neg_lo:[1,1,0]
	v_dot4_i32_iu8 v66, v5, v9, v66 neg_lo:[1,1,0]
	v_dot4_i32_iu8 v65, v5, v10, v65 neg_lo:[1,1,0]
	v_dot4_i32_iu8 v64, v5, v11, v64 neg_lo:[1,1,0]
	v_dot4_i32_iu8 v61, v6, v8, v61 neg_lo:[1,1,0]
	v_dot4_i32_iu8 v59, v6, v9, v59 neg_lo:[1,1,0]
	v_dot4_i32_iu8 v57, v6, v10, v57 neg_lo:[1,1,0]
	v_dot4_i32_iu8 v56, v6, v11, v56 neg_lo:[1,1,0]
	v_dot4_i32_iu8 v34, v7, v8, v34 neg_lo:[1,1,0]
	v_dot4_i32_iu8 v35, v7, v9, v35 neg_lo:[1,1,0]
	v_dot4_i32_iu8 v36, v7, v10, v36 neg_lo:[1,1,0]
	v_dot4_i32_iu8 v25, v7, v11, v25 neg_lo:[1,1,0]
	;; [unrolled: 1-line block ×16, first 2 shown]
	ds_load_b128 v[8:11], v22 offset:26880
	v_dot4_i32_iu8 v32, v7, v14, v32 neg_lo:[1,1,0]
	v_dot4_i32_iu8 v33, v7, v15, v33 neg_lo:[1,1,0]
	ds_load_b128 v[4:7], v21 offset:10496
	s_wait_dscnt 0x2
	v_dot4_i32_iu8 v38, v0, v16, v38 neg_lo:[1,1,0]
	v_dot4_i32_iu8 v39, v0, v17, v39 neg_lo:[1,1,0]
	v_dot4_i32_iu8 v40, v0, v18, v40 neg_lo:[1,1,0]
	v_dot4_i32_iu8 v41, v0, v19, v41 neg_lo:[1,1,0]
	v_dot4_i32_iu8 v43, v1, v16, v43 neg_lo:[1,1,0]
	v_dot4_i32_iu8 v44, v1, v17, v44 neg_lo:[1,1,0]
	v_dot4_i32_iu8 v20, v1, v18, v20 neg_lo:[1,1,0]
	v_dot4_i32_iu8 v45, v1, v19, v45 neg_lo:[1,1,0]
	v_dot4_i32_iu8 v46, v2, v16, v46 neg_lo:[1,1,0]
	v_dot4_i32_iu8 v47, v2, v17, v47 neg_lo:[1,1,0]
	v_dot4_i32_iu8 v51, v2, v18, v51 neg_lo:[1,1,0]
	v_dot4_i32_iu8 v54, v2, v19, v54 neg_lo:[1,1,0]
	v_dot4_i32_iu8 v55, v3, v16, v55 neg_lo:[1,1,0]
	v_dot4_i32_iu8 v58, v3, v17, v58 neg_lo:[1,1,0]
	v_dot4_i32_iu8 v60, v3, v18, v60 neg_lo:[1,1,0]
	v_dot4_i32_iu8 v62, v3, v19, v62 neg_lo:[1,1,0]
	ds_load_b128 v[12:15], v22 offset:27136
	s_wait_dscnt 0x2
	v_dot4_i32_iu8 v63, v0, v8, v63 neg_lo:[1,1,0]
	v_dot4_i32_iu8 v72, v0, v9, v72 neg_lo:[1,1,0]
	v_dot4_i32_iu8 v75, v0, v10, v75 neg_lo:[1,1,0]
	v_dot4_i32_iu8 v26, v0, v11, v26 neg_lo:[1,1,0]
	v_dot4_i32_iu8 v76, v1, v8, v76 neg_lo:[1,1,0]
	v_dot4_i32_iu8 v77, v1, v9, v77 neg_lo:[1,1,0]
	v_dot4_i32_iu8 v78, v1, v10, v78 neg_lo:[1,1,0]
	v_dot4_i32_iu8 v27, v1, v11, v27 neg_lo:[1,1,0]
	v_dot4_i32_iu8 v80, v2, v8, v80 neg_lo:[1,1,0]
	v_dot4_i32_iu8 v82, v2, v9, v82 neg_lo:[1,1,0]
	v_dot4_i32_iu8 v81, v2, v10, v81 neg_lo:[1,1,0]
	v_dot4_i32_iu8 v28, v2, v11, v28 neg_lo:[1,1,0]
	v_dot4_i32_iu8 v79, v3, v8, v79 neg_lo:[1,1,0]
	v_dot4_i32_iu8 v74, v3, v9, v74 neg_lo:[1,1,0]
	;; [unrolled: 18-line block ×3, first 2 shown]
	v_dot4_i32_iu8 v36, v7, v18, v36 neg_lo:[1,1,0]
	v_dot4_i32_iu8 v25, v7, v19, v25 neg_lo:[1,1,0]
	;; [unrolled: 1-line block ×16, first 2 shown]
	ds_load_b128 v[16:19], v22 offset:27392
	v_dot4_i32_iu8 v32, v7, v10, v32 neg_lo:[1,1,0]
	v_dot4_i32_iu8 v33, v7, v11, v33 neg_lo:[1,1,0]
	ds_load_b128 v[4:7], v21 offset:11008
	s_wait_dscnt 0x2
	v_dot4_i32_iu8 v38, v0, v12, v38 neg_lo:[1,1,0]
	v_dot4_i32_iu8 v39, v0, v13, v39 neg_lo:[1,1,0]
	v_dot4_i32_iu8 v40, v0, v14, v40 neg_lo:[1,1,0]
	v_dot4_i32_iu8 v41, v0, v15, v41 neg_lo:[1,1,0]
	v_dot4_i32_iu8 v43, v1, v12, v43 neg_lo:[1,1,0]
	v_dot4_i32_iu8 v44, v1, v13, v44 neg_lo:[1,1,0]
	v_dot4_i32_iu8 v20, v1, v14, v20 neg_lo:[1,1,0]
	v_dot4_i32_iu8 v45, v1, v15, v45 neg_lo:[1,1,0]
	v_dot4_i32_iu8 v46, v2, v12, v46 neg_lo:[1,1,0]
	v_dot4_i32_iu8 v47, v2, v13, v47 neg_lo:[1,1,0]
	v_dot4_i32_iu8 v51, v2, v14, v51 neg_lo:[1,1,0]
	v_dot4_i32_iu8 v54, v2, v15, v54 neg_lo:[1,1,0]
	v_dot4_i32_iu8 v55, v3, v12, v55 neg_lo:[1,1,0]
	v_dot4_i32_iu8 v58, v3, v13, v58 neg_lo:[1,1,0]
	v_dot4_i32_iu8 v60, v3, v14, v60 neg_lo:[1,1,0]
	v_dot4_i32_iu8 v62, v3, v15, v62 neg_lo:[1,1,0]
	ds_load_b128 v[8:11], v22 offset:27648
	s_wait_dscnt 0x2
	v_dot4_i32_iu8 v63, v0, v16, v63 neg_lo:[1,1,0]
	v_dot4_i32_iu8 v72, v0, v17, v72 neg_lo:[1,1,0]
	v_dot4_i32_iu8 v75, v0, v18, v75 neg_lo:[1,1,0]
	v_dot4_i32_iu8 v26, v0, v19, v26 neg_lo:[1,1,0]
	v_dot4_i32_iu8 v76, v1, v16, v76 neg_lo:[1,1,0]
	v_dot4_i32_iu8 v77, v1, v17, v77 neg_lo:[1,1,0]
	v_dot4_i32_iu8 v78, v1, v18, v78 neg_lo:[1,1,0]
	v_dot4_i32_iu8 v27, v1, v19, v27 neg_lo:[1,1,0]
	v_dot4_i32_iu8 v80, v2, v16, v80 neg_lo:[1,1,0]
	v_dot4_i32_iu8 v82, v2, v17, v82 neg_lo:[1,1,0]
	v_dot4_i32_iu8 v81, v2, v18, v81 neg_lo:[1,1,0]
	v_dot4_i32_iu8 v28, v2, v19, v28 neg_lo:[1,1,0]
	v_dot4_i32_iu8 v79, v3, v16, v79 neg_lo:[1,1,0]
	v_dot4_i32_iu8 v74, v3, v17, v74 neg_lo:[1,1,0]
	;; [unrolled: 18-line block ×3, first 2 shown]
	v_dot4_i32_iu8 v36, v7, v14, v36 neg_lo:[1,1,0]
	v_dot4_i32_iu8 v25, v7, v15, v25 neg_lo:[1,1,0]
	;; [unrolled: 1-line block ×16, first 2 shown]
	ds_load_b128 v[12:15], v22 offset:27904
	v_dot4_i32_iu8 v32, v7, v18, v32 neg_lo:[1,1,0]
	v_dot4_i32_iu8 v33, v7, v19, v33 neg_lo:[1,1,0]
	ds_load_b128 v[4:7], v21 offset:11520
	s_wait_dscnt 0x2
	v_dot4_i32_iu8 v38, v0, v8, v38 neg_lo:[1,1,0]
	v_dot4_i32_iu8 v39, v0, v9, v39 neg_lo:[1,1,0]
	v_dot4_i32_iu8 v40, v0, v10, v40 neg_lo:[1,1,0]
	v_dot4_i32_iu8 v41, v0, v11, v41 neg_lo:[1,1,0]
	v_dot4_i32_iu8 v43, v1, v8, v43 neg_lo:[1,1,0]
	v_dot4_i32_iu8 v44, v1, v9, v44 neg_lo:[1,1,0]
	v_dot4_i32_iu8 v20, v1, v10, v20 neg_lo:[1,1,0]
	v_dot4_i32_iu8 v45, v1, v11, v45 neg_lo:[1,1,0]
	v_dot4_i32_iu8 v46, v2, v8, v46 neg_lo:[1,1,0]
	v_dot4_i32_iu8 v47, v2, v9, v47 neg_lo:[1,1,0]
	v_dot4_i32_iu8 v51, v2, v10, v51 neg_lo:[1,1,0]
	v_dot4_i32_iu8 v54, v2, v11, v54 neg_lo:[1,1,0]
	v_dot4_i32_iu8 v55, v3, v8, v55 neg_lo:[1,1,0]
	v_dot4_i32_iu8 v58, v3, v9, v58 neg_lo:[1,1,0]
	v_dot4_i32_iu8 v60, v3, v10, v60 neg_lo:[1,1,0]
	v_dot4_i32_iu8 v62, v3, v11, v62 neg_lo:[1,1,0]
	ds_load_b128 v[16:19], v22 offset:28160
	s_wait_dscnt 0x2
	v_dot4_i32_iu8 v63, v0, v12, v63 neg_lo:[1,1,0]
	v_dot4_i32_iu8 v72, v0, v13, v72 neg_lo:[1,1,0]
	v_dot4_i32_iu8 v75, v0, v14, v75 neg_lo:[1,1,0]
	v_dot4_i32_iu8 v26, v0, v15, v26 neg_lo:[1,1,0]
	v_dot4_i32_iu8 v76, v1, v12, v76 neg_lo:[1,1,0]
	v_dot4_i32_iu8 v77, v1, v13, v77 neg_lo:[1,1,0]
	v_dot4_i32_iu8 v78, v1, v14, v78 neg_lo:[1,1,0]
	v_dot4_i32_iu8 v27, v1, v15, v27 neg_lo:[1,1,0]
	v_dot4_i32_iu8 v80, v2, v12, v80 neg_lo:[1,1,0]
	v_dot4_i32_iu8 v82, v2, v13, v82 neg_lo:[1,1,0]
	v_dot4_i32_iu8 v81, v2, v14, v81 neg_lo:[1,1,0]
	v_dot4_i32_iu8 v28, v2, v15, v28 neg_lo:[1,1,0]
	v_dot4_i32_iu8 v79, v3, v12, v79 neg_lo:[1,1,0]
	v_dot4_i32_iu8 v74, v3, v13, v74 neg_lo:[1,1,0]
	;; [unrolled: 18-line block ×3, first 2 shown]
	v_dot4_i32_iu8 v36, v7, v10, v36 neg_lo:[1,1,0]
	v_dot4_i32_iu8 v25, v7, v11, v25 neg_lo:[1,1,0]
	;; [unrolled: 1-line block ×16, first 2 shown]
	ds_load_b128 v[8:11], v22 offset:28416
	v_dot4_i32_iu8 v32, v7, v14, v32 neg_lo:[1,1,0]
	v_dot4_i32_iu8 v33, v7, v15, v33 neg_lo:[1,1,0]
	ds_load_b128 v[4:7], v21 offset:12032
	s_wait_dscnt 0x2
	v_dot4_i32_iu8 v38, v0, v16, v38 neg_lo:[1,1,0]
	v_dot4_i32_iu8 v39, v0, v17, v39 neg_lo:[1,1,0]
	v_dot4_i32_iu8 v40, v0, v18, v40 neg_lo:[1,1,0]
	v_dot4_i32_iu8 v41, v0, v19, v41 neg_lo:[1,1,0]
	v_dot4_i32_iu8 v43, v1, v16, v43 neg_lo:[1,1,0]
	v_dot4_i32_iu8 v44, v1, v17, v44 neg_lo:[1,1,0]
	v_dot4_i32_iu8 v20, v1, v18, v20 neg_lo:[1,1,0]
	v_dot4_i32_iu8 v45, v1, v19, v45 neg_lo:[1,1,0]
	v_dot4_i32_iu8 v46, v2, v16, v46 neg_lo:[1,1,0]
	v_dot4_i32_iu8 v47, v2, v17, v47 neg_lo:[1,1,0]
	v_dot4_i32_iu8 v51, v2, v18, v51 neg_lo:[1,1,0]
	v_dot4_i32_iu8 v54, v2, v19, v54 neg_lo:[1,1,0]
	v_dot4_i32_iu8 v55, v3, v16, v55 neg_lo:[1,1,0]
	v_dot4_i32_iu8 v58, v3, v17, v58 neg_lo:[1,1,0]
	v_dot4_i32_iu8 v60, v3, v18, v60 neg_lo:[1,1,0]
	v_dot4_i32_iu8 v62, v3, v19, v62 neg_lo:[1,1,0]
	ds_load_b128 v[12:15], v22 offset:28672
	s_wait_dscnt 0x2
	v_dot4_i32_iu8 v63, v0, v8, v63 neg_lo:[1,1,0]
	v_dot4_i32_iu8 v72, v0, v9, v72 neg_lo:[1,1,0]
	v_dot4_i32_iu8 v75, v0, v10, v75 neg_lo:[1,1,0]
	v_dot4_i32_iu8 v26, v0, v11, v26 neg_lo:[1,1,0]
	v_dot4_i32_iu8 v76, v1, v8, v76 neg_lo:[1,1,0]
	v_dot4_i32_iu8 v77, v1, v9, v77 neg_lo:[1,1,0]
	v_dot4_i32_iu8 v78, v1, v10, v78 neg_lo:[1,1,0]
	v_dot4_i32_iu8 v27, v1, v11, v27 neg_lo:[1,1,0]
	v_dot4_i32_iu8 v80, v2, v8, v80 neg_lo:[1,1,0]
	v_dot4_i32_iu8 v82, v2, v9, v82 neg_lo:[1,1,0]
	v_dot4_i32_iu8 v81, v2, v10, v81 neg_lo:[1,1,0]
	v_dot4_i32_iu8 v28, v2, v11, v28 neg_lo:[1,1,0]
	v_dot4_i32_iu8 v79, v3, v8, v79 neg_lo:[1,1,0]
	v_dot4_i32_iu8 v74, v3, v9, v74 neg_lo:[1,1,0]
	;; [unrolled: 18-line block ×3, first 2 shown]
	v_dot4_i32_iu8 v36, v7, v18, v36 neg_lo:[1,1,0]
	v_dot4_i32_iu8 v25, v7, v19, v25 neg_lo:[1,1,0]
	;; [unrolled: 1-line block ×16, first 2 shown]
	ds_load_b128 v[16:19], v22 offset:28928
	v_dot4_i32_iu8 v32, v7, v10, v32 neg_lo:[1,1,0]
	v_dot4_i32_iu8 v33, v7, v11, v33 neg_lo:[1,1,0]
	ds_load_b128 v[4:7], v21 offset:12544
	s_wait_dscnt 0x2
	v_dot4_i32_iu8 v38, v0, v12, v38 neg_lo:[1,1,0]
	v_dot4_i32_iu8 v39, v0, v13, v39 neg_lo:[1,1,0]
	v_dot4_i32_iu8 v40, v0, v14, v40 neg_lo:[1,1,0]
	v_dot4_i32_iu8 v41, v0, v15, v41 neg_lo:[1,1,0]
	v_dot4_i32_iu8 v43, v1, v12, v43 neg_lo:[1,1,0]
	v_dot4_i32_iu8 v44, v1, v13, v44 neg_lo:[1,1,0]
	v_dot4_i32_iu8 v20, v1, v14, v20 neg_lo:[1,1,0]
	v_dot4_i32_iu8 v45, v1, v15, v45 neg_lo:[1,1,0]
	v_dot4_i32_iu8 v46, v2, v12, v46 neg_lo:[1,1,0]
	v_dot4_i32_iu8 v47, v2, v13, v47 neg_lo:[1,1,0]
	v_dot4_i32_iu8 v51, v2, v14, v51 neg_lo:[1,1,0]
	v_dot4_i32_iu8 v54, v2, v15, v54 neg_lo:[1,1,0]
	v_dot4_i32_iu8 v55, v3, v12, v55 neg_lo:[1,1,0]
	v_dot4_i32_iu8 v58, v3, v13, v58 neg_lo:[1,1,0]
	v_dot4_i32_iu8 v60, v3, v14, v60 neg_lo:[1,1,0]
	v_dot4_i32_iu8 v62, v3, v15, v62 neg_lo:[1,1,0]
	ds_load_b128 v[8:11], v22 offset:29184
	s_wait_dscnt 0x2
	v_dot4_i32_iu8 v63, v0, v16, v63 neg_lo:[1,1,0]
	v_dot4_i32_iu8 v72, v0, v17, v72 neg_lo:[1,1,0]
	v_dot4_i32_iu8 v75, v0, v18, v75 neg_lo:[1,1,0]
	v_dot4_i32_iu8 v26, v0, v19, v26 neg_lo:[1,1,0]
	v_dot4_i32_iu8 v76, v1, v16, v76 neg_lo:[1,1,0]
	v_dot4_i32_iu8 v77, v1, v17, v77 neg_lo:[1,1,0]
	v_dot4_i32_iu8 v78, v1, v18, v78 neg_lo:[1,1,0]
	v_dot4_i32_iu8 v27, v1, v19, v27 neg_lo:[1,1,0]
	v_dot4_i32_iu8 v80, v2, v16, v80 neg_lo:[1,1,0]
	v_dot4_i32_iu8 v82, v2, v17, v82 neg_lo:[1,1,0]
	v_dot4_i32_iu8 v81, v2, v18, v81 neg_lo:[1,1,0]
	v_dot4_i32_iu8 v28, v2, v19, v28 neg_lo:[1,1,0]
	v_dot4_i32_iu8 v79, v3, v16, v79 neg_lo:[1,1,0]
	v_dot4_i32_iu8 v74, v3, v17, v74 neg_lo:[1,1,0]
	;; [unrolled: 18-line block ×3, first 2 shown]
	v_dot4_i32_iu8 v36, v7, v14, v36 neg_lo:[1,1,0]
	v_dot4_i32_iu8 v25, v7, v15, v25 neg_lo:[1,1,0]
	;; [unrolled: 1-line block ×16, first 2 shown]
	ds_load_b128 v[12:15], v22 offset:29440
	v_dot4_i32_iu8 v32, v7, v18, v32 neg_lo:[1,1,0]
	v_dot4_i32_iu8 v33, v7, v19, v33 neg_lo:[1,1,0]
	ds_load_b128 v[4:7], v21 offset:13056
	s_wait_dscnt 0x2
	v_dot4_i32_iu8 v38, v0, v8, v38 neg_lo:[1,1,0]
	v_dot4_i32_iu8 v39, v0, v9, v39 neg_lo:[1,1,0]
	v_dot4_i32_iu8 v40, v0, v10, v40 neg_lo:[1,1,0]
	v_dot4_i32_iu8 v41, v0, v11, v41 neg_lo:[1,1,0]
	v_dot4_i32_iu8 v43, v1, v8, v43 neg_lo:[1,1,0]
	v_dot4_i32_iu8 v44, v1, v9, v44 neg_lo:[1,1,0]
	v_dot4_i32_iu8 v20, v1, v10, v20 neg_lo:[1,1,0]
	v_dot4_i32_iu8 v45, v1, v11, v45 neg_lo:[1,1,0]
	v_dot4_i32_iu8 v46, v2, v8, v46 neg_lo:[1,1,0]
	v_dot4_i32_iu8 v47, v2, v9, v47 neg_lo:[1,1,0]
	v_dot4_i32_iu8 v51, v2, v10, v51 neg_lo:[1,1,0]
	v_dot4_i32_iu8 v54, v2, v11, v54 neg_lo:[1,1,0]
	v_dot4_i32_iu8 v55, v3, v8, v55 neg_lo:[1,1,0]
	v_dot4_i32_iu8 v58, v3, v9, v58 neg_lo:[1,1,0]
	v_dot4_i32_iu8 v60, v3, v10, v60 neg_lo:[1,1,0]
	v_dot4_i32_iu8 v62, v3, v11, v62 neg_lo:[1,1,0]
	ds_load_b128 v[16:19], v22 offset:29696
	s_wait_dscnt 0x2
	v_dot4_i32_iu8 v63, v0, v12, v63 neg_lo:[1,1,0]
	v_dot4_i32_iu8 v72, v0, v13, v72 neg_lo:[1,1,0]
	v_dot4_i32_iu8 v75, v0, v14, v75 neg_lo:[1,1,0]
	v_dot4_i32_iu8 v26, v0, v15, v26 neg_lo:[1,1,0]
	v_dot4_i32_iu8 v76, v1, v12, v76 neg_lo:[1,1,0]
	v_dot4_i32_iu8 v77, v1, v13, v77 neg_lo:[1,1,0]
	v_dot4_i32_iu8 v78, v1, v14, v78 neg_lo:[1,1,0]
	v_dot4_i32_iu8 v27, v1, v15, v27 neg_lo:[1,1,0]
	v_dot4_i32_iu8 v80, v2, v12, v80 neg_lo:[1,1,0]
	v_dot4_i32_iu8 v82, v2, v13, v82 neg_lo:[1,1,0]
	v_dot4_i32_iu8 v81, v2, v14, v81 neg_lo:[1,1,0]
	v_dot4_i32_iu8 v28, v2, v15, v28 neg_lo:[1,1,0]
	v_dot4_i32_iu8 v79, v3, v12, v79 neg_lo:[1,1,0]
	v_dot4_i32_iu8 v74, v3, v13, v74 neg_lo:[1,1,0]
	;; [unrolled: 18-line block ×3, first 2 shown]
	v_dot4_i32_iu8 v36, v7, v10, v36 neg_lo:[1,1,0]
	v_dot4_i32_iu8 v25, v7, v11, v25 neg_lo:[1,1,0]
	;; [unrolled: 1-line block ×16, first 2 shown]
	ds_load_b128 v[8:11], v22 offset:29952
	v_dot4_i32_iu8 v32, v7, v14, v32 neg_lo:[1,1,0]
	v_dot4_i32_iu8 v33, v7, v15, v33 neg_lo:[1,1,0]
	ds_load_b128 v[4:7], v21 offset:13568
	s_wait_dscnt 0x2
	v_dot4_i32_iu8 v38, v0, v16, v38 neg_lo:[1,1,0]
	v_dot4_i32_iu8 v39, v0, v17, v39 neg_lo:[1,1,0]
	v_dot4_i32_iu8 v40, v0, v18, v40 neg_lo:[1,1,0]
	v_dot4_i32_iu8 v41, v0, v19, v41 neg_lo:[1,1,0]
	v_dot4_i32_iu8 v43, v1, v16, v43 neg_lo:[1,1,0]
	v_dot4_i32_iu8 v44, v1, v17, v44 neg_lo:[1,1,0]
	v_dot4_i32_iu8 v20, v1, v18, v20 neg_lo:[1,1,0]
	v_dot4_i32_iu8 v45, v1, v19, v45 neg_lo:[1,1,0]
	v_dot4_i32_iu8 v46, v2, v16, v46 neg_lo:[1,1,0]
	v_dot4_i32_iu8 v47, v2, v17, v47 neg_lo:[1,1,0]
	v_dot4_i32_iu8 v51, v2, v18, v51 neg_lo:[1,1,0]
	v_dot4_i32_iu8 v54, v2, v19, v54 neg_lo:[1,1,0]
	v_dot4_i32_iu8 v55, v3, v16, v55 neg_lo:[1,1,0]
	v_dot4_i32_iu8 v58, v3, v17, v58 neg_lo:[1,1,0]
	v_dot4_i32_iu8 v60, v3, v18, v60 neg_lo:[1,1,0]
	v_dot4_i32_iu8 v62, v3, v19, v62 neg_lo:[1,1,0]
	ds_load_b128 v[12:15], v22 offset:30208
	s_wait_dscnt 0x2
	v_dot4_i32_iu8 v63, v0, v8, v63 neg_lo:[1,1,0]
	v_dot4_i32_iu8 v72, v0, v9, v72 neg_lo:[1,1,0]
	v_dot4_i32_iu8 v75, v0, v10, v75 neg_lo:[1,1,0]
	v_dot4_i32_iu8 v26, v0, v11, v26 neg_lo:[1,1,0]
	v_dot4_i32_iu8 v76, v1, v8, v76 neg_lo:[1,1,0]
	v_dot4_i32_iu8 v77, v1, v9, v77 neg_lo:[1,1,0]
	v_dot4_i32_iu8 v78, v1, v10, v78 neg_lo:[1,1,0]
	v_dot4_i32_iu8 v27, v1, v11, v27 neg_lo:[1,1,0]
	v_dot4_i32_iu8 v80, v2, v8, v80 neg_lo:[1,1,0]
	v_dot4_i32_iu8 v82, v2, v9, v82 neg_lo:[1,1,0]
	v_dot4_i32_iu8 v81, v2, v10, v81 neg_lo:[1,1,0]
	v_dot4_i32_iu8 v28, v2, v11, v28 neg_lo:[1,1,0]
	v_dot4_i32_iu8 v79, v3, v8, v79 neg_lo:[1,1,0]
	v_dot4_i32_iu8 v74, v3, v9, v74 neg_lo:[1,1,0]
	;; [unrolled: 18-line block ×3, first 2 shown]
	v_dot4_i32_iu8 v36, v7, v18, v36 neg_lo:[1,1,0]
	v_dot4_i32_iu8 v25, v7, v19, v25 neg_lo:[1,1,0]
	;; [unrolled: 1-line block ×16, first 2 shown]
	ds_load_b128 v[16:19], v22 offset:30464
	v_dot4_i32_iu8 v32, v7, v10, v32 neg_lo:[1,1,0]
	v_dot4_i32_iu8 v33, v7, v11, v33 neg_lo:[1,1,0]
	ds_load_b128 v[4:7], v21 offset:14080
	ds_load_b128 v[8:11], v21 offset:14336
	s_wait_dscnt 0x3
	v_dot4_i32_iu8 v38, v0, v12, v38 neg_lo:[1,1,0]
	v_dot4_i32_iu8 v39, v0, v13, v39 neg_lo:[1,1,0]
	;; [unrolled: 1-line block ×16, first 2 shown]
	s_lshl_b32 s2, s53, 7
	s_lshl_b32 s3, s35, 6
	s_wait_dscnt 0x1
	v_dot4_i32_iu8 v71, v4, v12, v71 neg_lo:[1,1,0]
	v_dot4_i32_iu8 v70, v4, v13, v70 neg_lo:[1,1,0]
	;; [unrolled: 1-line block ×16, first 2 shown]
	ds_load_b128 v[12:15], v22 offset:30720
	v_dot4_i32_iu8 v63, v0, v16, v63 neg_lo:[1,1,0]
	v_dot4_i32_iu8 v72, v0, v17, v72 neg_lo:[1,1,0]
	;; [unrolled: 1-line block ×4, first 2 shown]
	v_lshl_or_b32 v0, s47, 7, v24
	v_dot4_i32_iu8 v80, v2, v16, v80 neg_lo:[1,1,0]
	v_dot4_i32_iu8 v82, v2, v17, v82 neg_lo:[1,1,0]
	;; [unrolled: 1-line block ×4, first 2 shown]
	v_mul_lo_u32 v2, v0, s52
	v_dot4_i32_iu8 v76, v1, v16, v76 neg_lo:[1,1,0]
	v_dot4_i32_iu8 v77, v1, v17, v77 neg_lo:[1,1,0]
	;; [unrolled: 1-line block ×4, first 2 shown]
	v_lshl_add_u32 v1, s49, 7, v23
	v_dot4_i32_iu8 v37, v4, v16, v37 neg_lo:[1,1,0]
	v_dot4_i32_iu8 v83, v4, v17, v83 neg_lo:[1,1,0]
	;; [unrolled: 1-line block ×4, first 2 shown]
	v_mad_co_u64_u32 v[23:24], null, v1, s53, v[2:3]
	v_dot4_i32_iu8 v79, v3, v16, v79 neg_lo:[1,1,0]
	v_dot4_i32_iu8 v74, v3, v17, v74 neg_lo:[1,1,0]
	;; [unrolled: 1-line block ×4, first 2 shown]
	s_wait_alu 0xfffe
	s_sub_co_i32 s1, s1, s2
	v_dot4_i32_iu8 v42, v5, v16, v42 neg_lo:[1,1,0]
	buffer_load_b32 v2, v23, s[24:27], null offen
	v_add_nc_u32_e32 v4, s0, v23
	v_dot4_i32_iu8 v53, v5, v17, v53 neg_lo:[1,1,0]
	v_dot4_i32_iu8 v52, v5, v18, v52 neg_lo:[1,1,0]
	;; [unrolled: 1-line block ×4, first 2 shown]
	buffer_load_b32 v3, v4, s[24:27], null offen
	v_add_nc_u32_e32 v5, s1, v4
	v_dot4_i32_iu8 v49, v6, v17, v49 neg_lo:[1,1,0]
	v_dot4_i32_iu8 v48, v6, v18, v48 neg_lo:[1,1,0]
	;; [unrolled: 1-line block ×7, first 2 shown]
	ds_load_b128 v[16:19], v22 offset:30976
	ds_load_b128 v[23:26], v21 offset:14592
	buffer_load_b32 v4, v5, s[24:27], null offen
	v_add_nc_u32_e32 v6, s0, v5
	s_wait_dscnt 0x2
	v_dot4_i32_iu8 v33, v8, v12, v38 neg_lo:[1,1,0]
	v_dot4_i32_iu8 v38, v8, v13, v39 neg_lo:[1,1,0]
	;; [unrolled: 1-line block ×4, first 2 shown]
	buffer_load_b32 v5, v6, s[24:27], null offen
	v_dot4_i32_iu8 v41, v9, v12, v43 neg_lo:[1,1,0]
	v_dot4_i32_iu8 v43, v9, v13, v44 neg_lo:[1,1,0]
	;; [unrolled: 1-line block ×11, first 2 shown]
	s_wait_dscnt 0x1
	v_dot4_i32_iu8 v62, v8, v16, v63 neg_lo:[1,1,0]
	v_dot4_i32_iu8 v63, v8, v17, v72 neg_lo:[1,1,0]
	;; [unrolled: 1-line block ×4, first 2 shown]
	v_add_nc_u32_e32 v88, s1, v6
	s_wait_dscnt 0x0
	v_dot4_i32_iu8 v90, v26, v19, v7 neg_lo:[1,1,0]
	v_dot4_i32_iu8 v20, v9, v14, v20 neg_lo:[1,1,0]
	v_dot4_i32_iu8 v76, v9, v16, v76 neg_lo:[1,1,0]
	v_dot4_i32_iu8 v77, v9, v17, v77 neg_lo:[1,1,0]
	buffer_load_b32 v6, v88, s[24:27], null offen
	v_add_nc_u32_e32 v88, s0, v88
	v_dot4_i32_iu8 v78, v9, v18, v78 neg_lo:[1,1,0]
	v_dot4_i32_iu8 v27, v9, v19, v27 neg_lo:[1,1,0]
	v_dot4_i32_iu8 v80, v10, v16, v80 neg_lo:[1,1,0]
	v_dot4_i32_iu8 v82, v10, v17, v82 neg_lo:[1,1,0]
	buffer_load_b32 v7, v88, s[24:27], null offen
	v_add_nc_u32_e32 v88, s1, v88
	;; [unrolled: 6-line block ×3, first 2 shown]
	v_dot4_i32_iu8 v73, v11, v18, v73 neg_lo:[1,1,0]
	v_dot4_i32_iu8 v29, v11, v19, v29 neg_lo:[1,1,0]
	ds_load_b128 v[8:11], v21 offset:14848
	v_dot4_i32_iu8 v71, v23, v12, v71 neg_lo:[1,1,0]
	buffer_load_b32 v92, v88, s[24:27], null offen
	v_dot4_i32_iu8 v70, v23, v13, v70 neg_lo:[1,1,0]
	v_dot4_i32_iu8 v69, v23, v14, v69 neg_lo:[1,1,0]
	;; [unrolled: 1-line block ×15, first 2 shown]
	ds_load_b128 v[12:15], v22 offset:31232
	v_dot4_i32_iu8 v37, v23, v16, v37 neg_lo:[1,1,0]
	v_dot4_i32_iu8 v83, v23, v17, v83 neg_lo:[1,1,0]
	;; [unrolled: 1-line block ×15, first 2 shown]
	ds_load_b128 v[16:19], v22 offset:31488
	ds_load_b128 v[23:26], v21 offset:15104
	s_mul_i32 s2, s52, 60
	v_cmp_gt_i32_e32 vcc_lo, s45, v1
	s_wait_alu 0xfffe
	v_add3_u32 v88, s1, s2, v88
	s_wait_dscnt 0x2
	v_dot4_i32_iu8 v33, v8, v12, v33 neg_lo:[1,1,0]
	v_dot4_i32_iu8 v38, v8, v13, v38 neg_lo:[1,1,0]
	;; [unrolled: 1-line block ×4, first 2 shown]
	buffer_load_b32 v93, v88, s[24:27], null offen
	v_dot4_i32_iu8 v41, v9, v12, v41 neg_lo:[1,1,0]
	v_dot4_i32_iu8 v43, v9, v13, v43 neg_lo:[1,1,0]
	;; [unrolled: 1-line block ×12, first 2 shown]
	s_wait_dscnt 0x1
	v_dot4_i32_iu8 v62, v8, v16, v62 neg_lo:[1,1,0]
	v_dot4_i32_iu8 v63, v8, v17, v63 neg_lo:[1,1,0]
	v_dot4_i32_iu8 v72, v8, v18, v72 neg_lo:[1,1,0]
	v_dot4_i32_iu8 v75, v8, v19, v75 neg_lo:[1,1,0]
	v_dot4_i32_iu8 v76, v9, v16, v76 neg_lo:[1,1,0]
	v_dot4_i32_iu8 v77, v9, v17, v77 neg_lo:[1,1,0]
	v_dot4_i32_iu8 v78, v9, v18, v78 neg_lo:[1,1,0]
	v_dot4_i32_iu8 v27, v9, v19, v27 neg_lo:[1,1,0]
	v_dot4_i32_iu8 v80, v10, v16, v80 neg_lo:[1,1,0]
	v_dot4_i32_iu8 v82, v10, v17, v82 neg_lo:[1,1,0]
	v_dot4_i32_iu8 v81, v10, v18, v81 neg_lo:[1,1,0]
	v_dot4_i32_iu8 v28, v10, v19, v28 neg_lo:[1,1,0]
	v_dot4_i32_iu8 v79, v11, v16, v79 neg_lo:[1,1,0]
	v_dot4_i32_iu8 v74, v11, v17, v74 neg_lo:[1,1,0]
	v_dot4_i32_iu8 v73, v11, v18, v73 neg_lo:[1,1,0]
	v_dot4_i32_iu8 v29, v11, v19, v29 neg_lo:[1,1,0]
	ds_load_b128 v[8:11], v21 offset:15360
	s_wait_dscnt 0x1
	v_dot4_i32_iu8 v71, v23, v12, v71 neg_lo:[1,1,0]
	v_dot4_i32_iu8 v70, v23, v13, v70 neg_lo:[1,1,0]
	;; [unrolled: 1-line block ×16, first 2 shown]
	ds_load_b128 v[12:15], v22 offset:31744
	v_add_nc_u32_e32 v88, s0, v88
	v_dot4_i32_iu8 v37, v23, v16, v37 neg_lo:[1,1,0]
	v_dot4_i32_iu8 v83, v23, v17, v83 neg_lo:[1,1,0]
	;; [unrolled: 1-line block ×16, first 2 shown]
	ds_load_b128 v[16:19], v22 offset:32000
	ds_load_b128 v[23:26], v21 offset:15616
	buffer_load_b32 v94, v88, s[24:27], null offen
	s_wait_dscnt 0x2
	v_dot4_i32_iu8 v95, v9, v14, v20 neg_lo:[1,1,0]
	v_add_nc_u32_e32 v20, s1, v88
	v_dot4_i32_iu8 v33, v8, v12, v33 neg_lo:[1,1,0]
	v_dot4_i32_iu8 v38, v8, v13, v38 neg_lo:[1,1,0]
	v_dot4_i32_iu8 v39, v8, v14, v39 neg_lo:[1,1,0]
	v_dot4_i32_iu8 v40, v8, v15, v40 neg_lo:[1,1,0]
	buffer_load_b32 v88, v20, s[24:27], null offen
	v_add_nc_u32_e32 v20, s0, v20
	v_dot4_i32_iu8 v41, v9, v12, v41 neg_lo:[1,1,0]
	v_dot4_i32_iu8 v43, v9, v13, v43 neg_lo:[1,1,0]
	v_dot4_i32_iu8 v44, v9, v15, v44 neg_lo:[1,1,0]
	v_dot4_i32_iu8 v45, v10, v12, v45 neg_lo:[1,1,0]
	buffer_load_b32 v96, v20, s[24:27], null offen
	;; [unrolled: 6-line block ×3, first 2 shown]
	v_dot4_i32_iu8 v55, v11, v13, v55 neg_lo:[1,1,0]
	v_dot4_i32_iu8 v58, v11, v14, v58 neg_lo:[1,1,0]
	v_dot4_i32_iu8 v60, v11, v15, v60 neg_lo:[1,1,0]
	s_wait_dscnt 0x1
	v_dot4_i32_iu8 v62, v8, v16, v62 neg_lo:[1,1,0]
	v_dot4_i32_iu8 v63, v8, v17, v63 neg_lo:[1,1,0]
	;; [unrolled: 1-line block ×16, first 2 shown]
	ds_load_b128 v[8:11], v21 offset:15872
	s_wait_dscnt 0x1
	v_dot4_i32_iu8 v71, v23, v12, v71 neg_lo:[1,1,0]
	v_dot4_i32_iu8 v70, v23, v13, v70 neg_lo:[1,1,0]
	;; [unrolled: 1-line block ×16, first 2 shown]
	ds_load_b128 v[12:15], v22 offset:32256
	v_dot4_i32_iu8 v37, v23, v16, v37 neg_lo:[1,1,0]
	v_dot4_i32_iu8 v83, v23, v17, v83 neg_lo:[1,1,0]
	v_dot4_i32_iu8 v84, v23, v18, v84 neg_lo:[1,1,0]
	v_dot4_i32_iu8 v85, v23, v19, v85 neg_lo:[1,1,0]
	v_dot4_i32_iu8 v42, v24, v16, v42 neg_lo:[1,1,0]
	v_dot4_i32_iu8 v53, v24, v17, v53 neg_lo:[1,1,0]
	v_dot4_i32_iu8 v52, v24, v18, v52 neg_lo:[1,1,0]
	v_dot4_i32_iu8 v24, v24, v19, v86 neg_lo:[1,1,0]
	v_dot4_i32_iu8 v50, v25, v16, v50 neg_lo:[1,1,0]
	v_dot4_i32_iu8 v49, v25, v17, v49 neg_lo:[1,1,0]
	v_dot4_i32_iu8 v48, v25, v18, v48 neg_lo:[1,1,0]
	v_dot4_i32_iu8 v25, v25, v19, v87 neg_lo:[1,1,0]
	v_dot4_i32_iu8 v30, v26, v16, v30 neg_lo:[1,1,0]
	v_dot4_i32_iu8 v31, v26, v17, v31 neg_lo:[1,1,0]
	v_dot4_i32_iu8 v32, v26, v18, v32 neg_lo:[1,1,0]
	v_dot4_i32_iu8 v26, v26, v19, v90 neg_lo:[1,1,0]
	ds_load_b128 v[16:19], v22 offset:32512
	ds_load_b128 v[20:23], v21 offset:16128
	v_add_nc_u32_e32 v86, s0, v97
	s_wait_dscnt 0x2
	v_dot4_i32_iu8 v33, v8, v12, v33 neg_lo:[1,1,0]
	v_dot4_i32_iu8 v38, v8, v13, v38 neg_lo:[1,1,0]
	;; [unrolled: 1-line block ×3, first 2 shown]
	buffer_load_b32 v90, v86, s[24:27], null offen
	v_dot4_i32_iu8 v40, v8, v15, v40 neg_lo:[1,1,0]
	v_dot4_i32_iu8 v41, v9, v12, v41 neg_lo:[1,1,0]
	;; [unrolled: 1-line block ×12, first 2 shown]
	s_wait_dscnt 0x1
	v_dot4_i32_iu8 v62, v8, v16, v62 neg_lo:[1,1,0]
	v_dot4_i32_iu8 v63, v8, v17, v63 neg_lo:[1,1,0]
	;; [unrolled: 1-line block ×5, first 2 shown]
	v_add_nc_u32_e32 v76, s1, v86
	v_dot4_i32_iu8 v77, v9, v17, v77 neg_lo:[1,1,0]
	v_dot4_i32_iu8 v78, v9, v18, v78 neg_lo:[1,1,0]
	;; [unrolled: 1-line block ×4, first 2 shown]
	buffer_load_b32 v80, v76, s[24:27], null offen
	v_dot4_i32_iu8 v60, v11, v15, v60 neg_lo:[1,1,0]
	v_dot4_i32_iu8 v82, v10, v17, v82 neg_lo:[1,1,0]
	;; [unrolled: 1-line block ×8, first 2 shown]
	s_wait_dscnt 0x0
	v_dot4_i32_iu8 v29, v20, v12, v71 neg_lo:[1,1,0]
	v_add_nc_u32_e32 v71, s0, v76
	v_cmp_gt_i32_e64 s1, s33, v0
	v_dot4_i32_iu8 v70, v20, v13, v70 neg_lo:[1,1,0]
	v_dot4_i32_iu8 v67, v21, v12, v67 neg_lo:[1,1,0]
	;; [unrolled: 1-line block ×3, first 2 shown]
	buffer_load_b32 v71, v71, s[24:27], null offen
	v_dot4_i32_iu8 v61, v22, v12, v61 neg_lo:[1,1,0]
	v_dot4_i32_iu8 v59, v22, v13, v59 neg_lo:[1,1,0]
	;; [unrolled: 1-line block ×8, first 2 shown]
	s_and_b32 s0, s1, vcc_lo
	v_dot4_i32_iu8 v49, v22, v17, v49 neg_lo:[1,1,0]
	v_dot4_i32_iu8 v17, v23, v17, v31 neg_lo:[1,1,0]
	v_add_nc_u32_e32 v31, 64, v1
	v_dot4_i32_iu8 v69, v20, v14, v69 neg_lo:[1,1,0]
	v_dot4_i32_iu8 v68, v20, v15, v68 neg_lo:[1,1,0]
	;; [unrolled: 1-line block ×17, first 2 shown]
	v_or_b32_e32 v32, 1, v0
	v_dot4_i32_iu8 v15, v23, v15, v89 neg_lo:[1,1,0]
	s_wait_loadcnt 0xf
	s_wait_alu 0xfffe
	v_cndmask_b32_e64 v2, 0, v2, s0
	v_cmp_gt_i32_e64 s0, s45, v31
	s_delay_alu instid0(VALU_DEP_2)
	v_lshrrev_b32_e32 v50, 8, v2
	v_add_nc_u16 v25, v2, v33
	v_lshrrev_b32_e32 v26, 16, v2
	v_lshrrev_b32_e32 v2, 24, v2
	s_and_b32 s1, s1, s0
	v_add_nc_u16 v30, v50, v38
	s_wait_loadcnt 0xe
	s_wait_alu 0xfffe
	v_cndmask_b32_e64 v3, 0, v3, s1
	v_bfe_i32 v23, v25, 0, 8
	v_add_nc_u16 v2, v2, v40
	v_cmp_gt_i32_e64 s1, s33, v32
	v_bfe_i32 v25, v30, 0, 8
	v_lshrrev_b32_e32 v33, 8, v3
	v_add_nc_u16 v30, v3, v62
	v_bfe_i32 v2, v2, 0, 8
	s_and_b32 s2, s1, vcc_lo
	v_add_nc_u16 v26, v26, v39
	s_wait_loadcnt 0xd
	s_wait_alu 0xfffe
	v_cndmask_b32_e64 v4, 0, v4, s2
	s_and_b32 s1, s1, s0
	v_max_i16 v38, v2, 0
	v_add_nc_u16 v2, v33, v63
	v_lshrrev_b32_e32 v33, 16, v3
	v_lshrrev_b32_e32 v3, 24, v3
	;; [unrolled: 1-line block ×3, first 2 shown]
	s_wait_loadcnt 0xc
	s_wait_alu 0xfffe
	v_cndmask_b32_e64 v5, 0, v5, s1
	v_bfe_i32 v2, v2, 0, 8
	v_add_nc_u16 v33, v33, v72
	v_add_nc_u16 v3, v3, v8
	;; [unrolled: 1-line block ×3, first 2 shown]
	v_or_b32_e32 v43, 2, v0
	v_max_i16 v2, v2, 0
	v_bfe_i32 v8, v33, 0, 8
	v_add_nc_u16 v33, v4, v41
	v_max_i16 v23, v23, 0
	v_cmp_gt_i32_e64 s1, s33, v43
	v_and_b32_e32 v40, 0xffff, v2
	v_bfe_i32 v2, v3, 0, 8
	v_max_i16 v3, v8, 0
	v_bfe_i32 v8, v33, 0, 8
	v_bfe_i32 v33, v39, 0, 8
	v_lshrrev_b32_e32 v39, 16, v4
	v_max_i16 v41, v2, 0
	v_lshrrev_b32_e32 v2, 24, v4
	s_and_b32 s2, s1, vcc_lo
	v_max_i16 v4, v8, 0
	v_max_i16 v8, v33, 0
	v_add_nc_u16 v33, v39, v87
	v_add_nc_u16 v2, v2, v44
	v_lshrrev_b32_e32 v44, 8, v5
	v_add_nc_u16 v39, v5, v75
	s_wait_loadcnt 0xb
	s_wait_alu 0xfffe
	v_cndmask_b32_e64 v6, 0, v6, s2
	s_and_b32 s1, s1, s0
	v_bfe_i32 v2, v2, 0, 8
	s_wait_loadcnt 0xa
	s_wait_alu 0xfffe
	v_cndmask_b32_e64 v7, 0, v7, s1
	v_max_i16 v25, v25, 0
	v_lshrrev_b32_e32 v53, 8, v6
	v_bfe_i32 v26, v26, 0, 8
	v_max_i16 v50, v2, 0
	v_add_nc_u16 v2, v44, v77
	v_lshrrev_b32_e32 v44, 16, v5
	v_lshrrev_b32_e32 v5, 24, v5
	v_add_nc_u16 v27, v7, v27
	v_add_nc_u32_e32 v77, 0x43, v0
	v_bfe_i32 v2, v2, 0, 8
	v_add_nc_u16 v44, v44, v78
	v_add_nc_u16 v5, v5, v9
	v_bfe_i32 v30, v30, 0, 8
	v_and_b32_e32 v23, 0xffff, v23
	v_max_i16 v2, v2, 0
	v_bfe_i32 v9, v44, 0, 8
	v_add_nc_u16 v44, v6, v45
	v_add_nc_u16 v45, v53, v46
	v_and_b32_e32 v25, 0xffff, v25
	v_and_b32_e32 v46, 0xffff, v2
	v_bfe_i32 v2, v5, 0, 8
	v_max_i16 v5, v9, 0
	v_bfe_i32 v9, v44, 0, 8
	v_bfe_i32 v44, v45, 0, 8
	v_lshrrev_b32_e32 v45, 16, v6
	v_max_i16 v53, v2, 0
	v_lshrrev_b32_e32 v2, 24, v6
	v_max_i16 v6, v9, 0
	v_max_i16 v9, v44, 0
	v_add_nc_u16 v44, v45, v47
	v_or_b32_e32 v45, 3, v0
	v_add_nc_u16 v2, v2, v51
	v_lshrrev_b32_e32 v47, 8, v7
	v_max_i16 v26, v26, 0
	v_max_i16 v30, v30, 0
	v_cmp_gt_i32_e64 s1, s33, v45
	v_bfe_i32 v2, v2, 0, 8
	v_bfe_i32 v39, v39, 0, 8
	;; [unrolled: 1-line block ×3, first 2 shown]
	v_and_b32_e32 v30, 0xffff, v30
	s_and_b32 s2, s1, vcc_lo
	v_max_i16 v51, v2, 0
	v_add_nc_u16 v2, v47, v82
	v_lshrrev_b32_e32 v47, 16, v7
	s_wait_loadcnt 0x9
	s_wait_alu 0xfffe
	v_cndmask_b32_e64 v62, 0, v91, s2
	v_lshrrev_b32_e32 v7, 24, v7
	s_and_b32 s1, s1, s0
	v_bfe_i32 v2, v2, 0, 8
	v_add_nc_u16 v47, v47, v81
	v_lshrrev_b32_e32 v63, 8, v62
	v_add_nc_u16 v7, v7, v10
	v_max_i16 v39, v39, 0
	v_max_i16 v2, v2, 0
	v_bfe_i32 v10, v47, 0, 8
	v_add_nc_u16 v47, v62, v54
	v_add_nc_u16 v54, v63, v55
	v_and_b32_e32 v39, 0xffff, v39
	v_and_b32_e32 v55, 0xffff, v2
	v_bfe_i32 v2, v7, 0, 8
	v_max_i16 v7, v10, 0
	v_bfe_i32 v10, v47, 0, 8
	v_bfe_i32 v47, v54, 0, 8
	v_lshrrev_b32_e32 v54, 16, v62
	v_max_i16 v63, v2, 0
	v_lshrrev_b32_e32 v2, 24, v62
	v_bfe_i32 v44, v44, 0, 8
	v_bfe_i32 v27, v27, 0, 8
	v_add_nc_u16 v54, v54, v58
	s_wait_loadcnt 0x8
	s_wait_alu 0xfffe
	v_cndmask_b32_e64 v58, 0, v92, s1
	v_add_nc_u16 v2, v2, v60
	v_or_b32_e32 v60, 64, v0
	v_and_b32_e32 v4, 0xffff, v4
	v_and_b32_e32 v8, 0xffff, v8
	v_lshrrev_b32_e32 v62, 8, v58
	v_bfe_i32 v2, v2, 0, 8
	v_cmp_gt_i32_e64 s1, s33, v60
	v_add_nc_u16 v28, v58, v28
	v_max_i16 v33, v33, 0
	v_and_b32_e32 v6, 0xffff, v6
	v_max_i16 v72, v2, 0
	v_add_nc_u16 v2, v62, v74
	s_and_b32 s2, s1, vcc_lo
	v_lshrrev_b32_e32 v62, 16, v58
	s_wait_loadcnt 0x7
	s_wait_alu 0xfffe
	v_cndmask_b32_e64 v74, 0, v93, s2
	v_lshrrev_b32_e32 v58, 24, v58
	v_bfe_i32 v2, v2, 0, 8
	s_and_b32 s1, s1, s0
	v_add_nc_u16 v62, v62, v73
	v_lshrrev_b32_e32 v73, 8, v74
	v_add_nc_u16 v11, v58, v11
	v_max_i16 v2, v2, 0
	v_add_nc_u16 v29, v74, v29
	v_bfe_i32 v58, v62, 0, 8
	v_add_nc_u16 v62, v73, v70
	v_and_b32_e32 v9, 0xffff, v9
	v_and_b32_e32 v70, 0xffff, v2
	v_bfe_i32 v2, v11, 0, 8
	v_max_i16 v11, v58, 0
	v_bfe_i32 v58, v62, 0, 8
	v_lshrrev_b32_e32 v62, 16, v74
	v_max_i16 v44, v44, 0
	v_max_i16 v73, v2, 0
	v_lshrrev_b32_e32 v2, 24, v74
	v_lshlrev_b32_e32 v5, 16, v5
	v_add_nc_u16 v62, v62, v69
	v_max_i16 v27, v27, 0
	v_bfe_i32 v28, v28, 0, 8
	v_add_nc_u16 v2, v2, v68
	v_add_nc_u32_e32 v68, 0x41, v0
	s_wait_loadcnt 0x6
	s_wait_alu 0xfffe
	v_cndmask_b32_e64 v69, 0, v94, s1
	v_lshl_or_b32 v4, v8, 8, v4
	v_lshlrev_b32_e32 v8, 16, v33
	v_bfe_i32 v2, v2, 0, 8
	v_cmp_gt_i32_e64 s1, s33, v68
	v_lshrrev_b32_e32 v74, 8, v69
	v_add_nc_u16 v34, v69, v34
	v_lshl_or_b32 v6, v9, 8, v6
	v_max_i16 v75, v2, 0
	s_and_b32 s2, s1, vcc_lo
	v_add_nc_u16 v2, v74, v35
	v_lshrrev_b32_e32 v35, 16, v69
	s_wait_loadcnt 0x5
	s_wait_alu 0xfffe
	v_cndmask_b32_e64 v74, 0, v88, s2
	v_lshrrev_b32_e32 v69, 24, v69
	s_and_b32 s1, s1, s0
	v_bfe_i32 v2, v2, 0, 8
	v_add_nc_u16 v35, v35, v36
	v_lshrrev_b32_e32 v36, 8, v74
	v_add_nc_u16 v20, v69, v20
	v_add_nc_u16 v67, v74, v67
	v_max_i16 v2, v2, 0
	v_bfe_i32 v35, v35, 0, 8
	v_add_nc_u16 v36, v36, v66
	v_lshlrev_b32_e32 v9, 16, v44
	v_and_b32_e32 v27, 0xffff, v27
	v_and_b32_e32 v66, 0xffff, v2
	v_bfe_i32 v2, v20, 0, 8
	v_max_i16 v20, v35, 0
	v_bfe_i32 v35, v67, 0, 8
	v_lshrrev_b32_e32 v67, 16, v74
	v_max_i16 v28, v28, 0
	v_max_i16 v69, v2, 0
	v_lshrrev_b32_e32 v2, 24, v74
	v_max_i16 v10, v10, 0
	v_add_nc_u16 v65, v67, v65
	s_wait_loadcnt 0x4
	s_wait_alu 0xfffe
	v_cndmask_b32_e64 v67, 0, v96, s1
	v_max_i16 v47, v47, 0
	v_add_nc_u16 v2, v2, v64
	v_bfe_i32 v54, v54, 0, 8
	v_bfe_i32 v64, v65, 0, 8
	v_add_nc_u32_e32 v65, 0x42, v0
	v_lshrrev_b32_e32 v74, 8, v67
	v_bfe_i32 v2, v2, 0, 8
	v_add_nc_u16 v37, v67, v37
	v_and_b32_e32 v28, 0xffff, v28
	v_cmp_gt_i32_e64 s1, s33, v65
	v_lshlrev_b32_e32 v7, 16, v7
	v_max_i16 v76, v2, 0
	v_add_nc_u16 v2, v74, v42
	v_lshrrev_b32_e32 v42, 16, v67
	s_and_b32 s2, s1, vcc_lo
	s_and_b32 s1, s1, s0
	s_wait_loadcnt 0x3
	s_wait_alu 0xfffe
	v_cndmask_b32_e64 v74, 0, v98, s2
	v_bfe_i32 v2, v2, 0, 8
	v_add_nc_u16 v42, v42, v52
	v_lshrrev_b32_e32 v52, 24, v67
	v_and_b32_e32 v10, 0xffff, v10
	v_lshrrev_b32_e32 v67, 8, v74
	v_max_i16 v2, v2, 0
	v_and_b32_e32 v47, 0xffff, v47
	v_add_nc_u16 v21, v52, v21
	v_add_nc_u16 v52, v74, v61
	;; [unrolled: 1-line block ×3, first 2 shown]
	v_and_b32_e32 v61, 0xffff, v2
	v_lshrrev_b32_e32 v67, 24, v74
	v_bfe_i32 v2, v21, 0, 8
	v_bfe_i32 v21, v52, 0, 8
	;; [unrolled: 1-line block ×3, first 2 shown]
	v_lshrrev_b32_e32 v59, 16, v74
	v_add_nc_u16 v56, v67, v56
	v_max_i16 v74, v2, 0
	v_max_i16 v2, v21, 0
	;; [unrolled: 1-line block ×3, first 2 shown]
	v_add_nc_u16 v52, v59, v57
	v_max_i16 v54, v54, 0
	v_lshl_or_b32 v10, v47, 8, v10
	v_and_b32_e32 v59, 0xffff, v2
	v_bfe_i32 v36, v36, 0, 8
	v_bfe_i32 v2, v52, 0, 8
	s_wait_loadcnt 0x2
	v_cndmask_b32_e64 v57, 0, v90, s1
	v_bfe_i32 v52, v56, 0, 8
	v_cmp_gt_i32_e64 s1, s33, v77
	v_max_i16 v35, v35, 0
	v_max_i16 v67, v2, 0
	v_add_nc_u16 v24, v57, v24
	v_lshrrev_b32_e32 v56, 8, v57
	s_and_b32 vcc_lo, s1, vcc_lo
	v_max_i16 v36, v36, 0
	v_and_b32_e32 v35, 0xffff, v35
	v_bfe_i32 v2, v24, 0, 8
	v_add_nc_u16 v24, v56, v49
	v_lshrrev_b32_e32 v49, 16, v57
	v_lshrrev_b32_e32 v56, 24, v57
	v_and_b32_e32 v36, 0xffff, v36
	v_max_i16 v2, v2, 0
	v_bfe_i32 v24, v24, 0, 8
	v_add_nc_u16 v48, v49, v48
	v_add_nc_u16 v22, v56, v22
	v_max_i16 v64, v64, 0
	v_and_b32_e32 v56, 0xffff, v2
	v_max_i16 v2, v24, 0
	v_bfe_i32 v24, v48, 0, 8
	s_wait_loadcnt 0x1
	s_wait_alu 0xfffe
	v_cndmask_b32_e32 v49, 0, v80, vcc_lo
	s_and_b32 vcc_lo, s1, s0
	v_cmp_gt_i32_e64 s0, s15, v0
	v_and_b32_e32 v57, 0xffff, v2
	v_bfe_i32 v22, v22, 0, 8
	v_lshrrev_b32_e32 v48, 8, v49
	v_add_nc_u16 v12, v49, v12
	v_max_i16 v24, v24, 0
	v_bfe_i32 v37, v37, 0, 8
	v_max_i16 v22, v22, 0
	v_add_nc_u16 v2, v48, v13
	v_lshrrev_b32_e32 v13, 16, v49
	v_bfe_i32 v12, v12, 0, 8
	v_bfe_i32 v34, v34, 0, 8
	v_max_i16 v37, v37, 0
	s_wait_loadcnt 0x0
	s_wait_alu 0xfffe
	v_cndmask_b32_e32 v48, 0, v71, vcc_lo
	v_bfe_i32 v2, v2, 0, 8
	v_add_nc_u16 v13, v13, v14
	v_lshrrev_b32_e32 v14, 24, v49
	v_cmp_gt_i32_e32 vcc_lo, s28, v1
	v_lshrrev_b32_e32 v49, 8, v48
	v_max_i16 v2, v2, 0
	v_add_nc_u16 v16, v48, v16
	v_max_i16 v12, v12, 0
	s_and_b32 s1, s0, vcc_lo
	v_add_nc_u16 v17, v49, v17
	v_and_b32_e32 v49, 0xffff, v2
	v_add_nc_u16 v2, v14, v15
	v_bfe_i32 v14, v16, 0, 8
	v_lshrrev_b32_e32 v16, 16, v48
	v_bfe_i32 v15, v17, 0, 8
	v_lshrrev_b32_e32 v17, 24, v48
	v_bfe_i32 v2, v2, 0, 8
	v_bfe_i32 v13, v13, 0, 8
	v_add_nc_u16 v16, v16, v18
	v_and_b32_e32 v12, 0xffff, v12
	v_add_nc_u16 v17, v17, v19
	v_max_i16 v18, v2, 0
	v_mul_lo_u32 v2, v0, s34
	v_bfe_i32 v16, v16, 0, 8
	v_lshl_or_b32 v19, v25, 8, v23
	v_bfe_i32 v17, v17, 0, 8
	v_lshlrev_b32_e32 v23, 16, v26
	v_lshlrev_b32_e32 v25, 24, v38
	v_max_i16 v13, v13, 0
	v_max_i16 v14, v14, 0
	v_mad_co_u64_u32 v[0:1], null, v1, s35, v[2:3]
	v_max_i16 v2, v17, 0
	s_wait_alu 0xfffe
	v_cndmask_b32_e64 v17, 0x80000000, 0, s1
	v_cmp_gt_i32_e64 s1, s28, v31
	v_max_i16 v1, v16, 0
	v_or3_b32 v16, v19, v23, v25
	v_lshl_or_b32 v23, v40, 8, v30
	v_add_nc_u32_e32 v19, s3, v0
	s_and_b32 s0, s0, s1
	v_lshlrev_b32_e32 v3, 16, v3
	v_lshlrev_b32_e32 v25, 24, v41
	s_wait_alu 0xfffe
	v_cndmask_b32_e64 v26, 0x80000000, 0, s0
	v_cmp_gt_i32_e64 s0, s15, v32
	v_add_nc_u32_e32 v17, v17, v0
	v_add_nc_u32_e32 v0, s34, v0
	v_or3_b32 v3, v23, v3, v25
	v_add_nc_u32_e32 v23, v26, v19
	s_and_b32 s2, s0, s1
	s_clause 0x1
	buffer_store_b32 v16, v17, s[20:23], null offen
	buffer_store_b32 v3, v23, s[20:23], null offen
	v_cndmask_b32_e64 v16, 0x80000000, 0, s2
	v_cmp_gt_i32_e64 s2, s15, v43
	v_lshl_or_b32 v25, v46, 8, v39
	v_lshlrev_b32_e32 v26, 24, v53
	s_and_b32 s0, s0, vcc_lo
	v_add_nc_u32_e32 v3, s34, v19
	s_wait_alu 0xfffe
	v_cndmask_b32_e64 v19, 0x80000000, 0, s0
	s_and_b32 s0, s2, vcc_lo
	v_lshlrev_b32_e32 v17, 24, v50
	v_or3_b32 v5, v25, v5, v26
	v_lshlrev_b32_e32 v23, 24, v51
	s_wait_alu 0xfffe
	v_cndmask_b32_e64 v25, 0x80000000, 0, s0
	v_add_nc_u32_e32 v16, v16, v3
	v_add_nc_u32_e32 v3, s34, v3
	s_and_b32 s0, s2, s1
	v_or3_b32 v4, v4, v8, v17
	v_add_nc_u32_e32 v8, v0, v19
	v_or3_b32 v6, v6, v9, v23
	v_add3_u32 v0, v25, s34, v0
	s_wait_alu 0xfffe
	v_cndmask_b32_e64 v19, 0x80000000, 0, s0
	v_cmp_gt_i32_e64 s0, s15, v45
	v_lshl_or_b32 v9, v55, 8, v27
	v_lshlrev_b32_e32 v17, 24, v63
	s_clause 0x2
	buffer_store_b32 v5, v16, s[20:23], null offen
	buffer_store_b32 v4, v8, s[20:23], null offen
	;; [unrolled: 1-line block ×3, first 2 shown]
	v_add_nc_u32_e32 v5, s34, v3
	s_and_b32 s2, s0, s1
	s_and_b32 s0, s0, vcc_lo
	v_or3_b32 v0, v9, v7, v17
	v_add_nc_u32_e32 v4, v3, v19
	v_lshl_or_b32 v6, v70, 8, v28
	v_lshlrev_b32_e32 v7, 16, v11
	v_lshlrev_b32_e32 v8, 24, v73
	s_wait_alu 0xfffe
	v_cndmask_b32_e64 v9, 0x80000000, 0, s2
	v_subrev_nc_u32_e32 v11, s3, v5
	v_lshlrev_b32_e32 v16, 16, v54
	v_lshlrev_b32_e32 v17, 24, v72
	v_cndmask_b32_e64 v19, 0x80000000, 0, s0
	v_cmp_gt_i32_e64 s0, s15, v77
	buffer_store_b32 v0, v4, s[20:23], null offen
	v_or3_b32 v0, v6, v7, v8
	v_add_nc_u32_e32 v4, v5, v9
	v_or3_b32 v6, v10, v16, v17
	v_add_nc_u32_e32 v7, v11, v19
	s_and_b32 s4, s0, vcc_lo
	s_and_b32 s0, s0, s1
	v_max_i16 v15, v15, 0
	s_clause 0x1
	buffer_store_b32 v0, v4, s[20:23], null offen
	buffer_store_b32 v6, v7, s[20:23], null offen
	v_cndmask_b32_e64 v7, 0x80000000, 0, s0
	v_cmp_ge_i32_e64 s0, s15, v77
	v_and_b32_e32 v14, 0xffff, v14
	v_and_b32_e32 v15, 0xffff, v15
	v_lshl_or_b32 v8, v49, 8, v12
	v_lshlrev_b32_e32 v9, 16, v13
	v_lshlrev_b32_e32 v10, 24, v18
	s_and_b32 s0, s0, s1
	v_lshl_or_b32 v6, v15, 8, v14
	s_wait_alu 0xfffe
	v_cndmask_b32_e64 v12, 0x80000000, 0, s0
	v_cmp_gt_i32_e64 s0, s15, v65
	v_or3_b32 v0, v8, v9, v10
	v_lshlrev_b32_e32 v1, 16, v1
	v_lshlrev_b32_e32 v2, 24, v2
	v_lshl_or_b32 v8, v57, 8, v56
	v_lshlrev_b32_e32 v9, 16, v24
	v_lshlrev_b32_e32 v10, 24, v22
	s_lshl_b32 s2, s34, 6
	v_cndmask_b32_e64 v4, 0x80000000, 0, s4
	s_and_b32 s0, s0, vcc_lo
	s_wait_alu 0xfffe
	v_add_nc_u32_e32 v3, s2, v3
	v_or3_b32 v1, v6, v1, v2
	v_add3_u32 v2, v5, s2, v7
	v_or3_b32 v5, v8, v9, v10
	v_cndmask_b32_e64 v10, 0x80000000, 0, s0
	v_cmp_ge_i32_e64 s0, s15, v65
	v_add3_u32 v4, v4, s2, v11
	v_add_nc_u32_e32 v6, v3, v12
	v_subrev_nc_u32_e32 v3, s3, v3
	s_clause 0x2
	buffer_store_b32 v0, v4, s[20:23], null offen
	buffer_store_b32 v1, v2, s[20:23], null offen
	;; [unrolled: 1-line block ×3, first 2 shown]
	s_and_b32 s0, s0, vcc_lo
	v_add_nc_u32_e32 v1, v3, v10
	s_wait_alu 0xfffe
	v_cndmask_b32_e64 v6, 0x80000000, 0, s0
	v_cmp_gt_i32_e64 s0, s15, v68
	v_subrev_nc_u32_e32 v2, s34, v3
	v_lshl_or_b32 v3, v36, 8, v35
	v_lshlrev_b32_e32 v4, 16, v64
	v_lshlrev_b32_e32 v5, 24, v76
	v_bfe_i32 v42, v42, 0, 8
	v_and_b32_e32 v21, 0xffff, v21
	v_max_i16 v52, v52, 0
	v_bfe_i32 v29, v29, 0, 8
	s_and_b32 s0, s0, s1
	v_or3_b32 v3, v3, v4, v5
	v_add_nc_u32_e32 v4, s3, v2
	v_add_nc_u32_e32 v2, v2, v6
	s_wait_alu 0xfffe
	v_cndmask_b32_e64 v6, 0x80000000, 0, s0
	v_cmp_gt_i32_e64 s0, s15, v60
	v_max_i16 v34, v34, 0
	v_and_b32_e32 v37, 0xffff, v37
	v_max_i16 v42, v42, 0
	v_lshl_or_b32 v7, v21, 8, v59
	v_lshlrev_b32_e32 v8, 16, v67
	v_lshlrev_b32_e32 v9, 24, v52
	v_max_i16 v29, v29, 0
	v_max_i16 v58, v58, 0
	v_bfe_i32 v62, v62, 0, 8
	v_cmp_ge_i32_e64 s2, s15, v68
	s_and_b32 s0, s0, vcc_lo
	v_and_b32_e32 v34, 0xffff, v34
	v_or3_b32 v0, v7, v8, v9
	v_lshl_or_b32 v7, v61, 8, v37
	v_lshlrev_b32_e32 v8, 16, v42
	v_lshlrev_b32_e32 v9, 24, v74
	v_and_b32_e32 v29, 0xffff, v29
	v_and_b32_e32 v58, 0xffff, v58
	v_max_i16 v62, v62, 0
	s_wait_alu 0xfffe
	v_cndmask_b32_e64 v11, 0x80000000, 0, s0
	s_and_b32 s0, s2, s1
	v_or3_b32 v5, v7, v8, v9
	v_subrev_nc_u32_e32 v7, s34, v4
	v_lshl_or_b32 v8, v66, 8, v34
	v_lshlrev_b32_e32 v9, 16, v20
	v_lshlrev_b32_e32 v10, 24, v69
	s_wait_alu 0xfffe
	v_cndmask_b32_e64 v12, 0x80000000, 0, s0
	v_lshl_or_b32 v13, v58, 8, v29
	v_lshlrev_b32_e32 v14, 16, v62
	v_lshlrev_b32_e32 v15, 24, v75
	v_subrev_nc_u32_e32 v11, s3, v11
	v_add_nc_u32_e32 v4, v4, v6
	v_or3_b32 v6, v8, v9, v10
	v_add_nc_u32_e32 v8, v7, v12
	v_or3_b32 v9, v13, v14, v15
	v_add_nc_u32_e32 v7, v11, v7
	s_clause 0x4
	buffer_store_b32 v0, v1, s[20:23], null offen
	buffer_store_b32 v3, v2, s[20:23], null offen
	;; [unrolled: 1-line block ×5, first 2 shown]
	s_nop 0
	s_sendmsg sendmsg(MSG_DEALLOC_VGPRS)
	s_endpgm
	.section	.rodata,"a",@progbits
	.p2align	6, 0x0
	.amdhsa_kernel _ZN2ck16tensor_operation6device12_GLOBAL__N_137kernel_grouped_conv_fwd_dl_multiple_dINS_32GridwiseGemmDlMultipleD_km_kn_mnILi256EaiNS_5TupleIJaEEEaNS0_12element_wise11PassThroughES8_NS7_7AddReluELNS_25InMemoryDataOperationEnumE0ENS_16TensorDescriptorINS5_IJNS_5EmbedINS5_IJiiiiEEESD_Lb0EEENS_11PassThroughIiEENS_3PadIiiiLb0EEESI_SG_SG_NSC_INS5_IJiiEEESJ_Lb0EEESK_SG_NS_23Merge_v2_magic_divisionINS5_IJiiiEEEEESN_NS_8RightPadIiiLb0EEESP_NS_7UnMergeISJ_Lb0EEESG_EEENS5_IJNS_8SequenceIJLi0EEEENST_IJLi1EEEENST_IJLi2EEEENST_IJLi3EEEENST_IJLi4EEEENST_IJLi5EEEENST_IJLi6EEEENST_IJLi7EEEENST_IJLi8EEEENST_IJLi9ELi11ELi13EEEENST_IJLi10ELi12ELi14EEEENST_IJLi15EEEENST_IJLi16EEEENST_IJLi18EEEENST_IJLi17EEEEEEENS5_IJNST_IJLi1ELi2ELi3ELi4EEEESZ_S10_S11_S12_NST_IJLi9EEEENST_IJLi10ELi11EEEENST_IJLi12ELi13EEEENST_IJLi14EEEES15_S16_S18_S17_NST_IJLi19ELi20EEEENST_IJLi21EEEEEEENST_IJLi19ELi21ELi20EEEElEENSB_INS5_IJSR_SP_SP_SR_SG_EEENS5_IJSU_SV_SW_SY_SX_EEENS5_IJNST_IJLi1ELi2EEEESX_SY_NST_IJLi5ELi6EEEES11_EEENST_IJLi5ELi7ELi6EEEElEENSB_INS5_IJSK_SP_SP_EEENS5_IJSU_SV_SW_EEENS5_IJS1M_SX_SY_EEENST_IJLi3ELi4EEEElEELi128ELi128ELi16ELi4ELi4ELi4ELi1ENST_IJLi8ELi2EEEES1W_NST_IJLi8ELi1ELi1ELi4EEEENST_IJLi2ELi1ELi128ELi1EEEENST_IJLi1ELi2ELi0ELi3EEEES1Z_NST_IJLi4ELi1ELi1ELi4EEEES1Z_NST_IJLi1ELi1ELi1ELi4EEEES1X_S1Y_S1Z_S1Z_S20_S1Z_S21_NST_IJLi0ELi1ELi2ELi3ELi4ELi5EEEELi5ELi4EEEaNS5_IJPKaEEEaS8_S8_S9_NSB_INS5_IJSE_SG_SI_SI_SG_SG_SK_SK_SG_SN_SN_SP_SP_SR_SG_SG_NSQ_INS5_IJiNS_17integral_constantIiLi128EEEEEELb0EEENSF_INS27_IiLi4EEEEEEEENS5_IJSU_SV_SW_SX_SY_SZ_S10_S11_S12_S13_S14_S15_S16_S17_S18_NST_IJLi19EEEES1G_NST_IJLi20EEEEEEENS5_IJS1A_SZ_S10_S11_S12_S1B_S1C_S1D_S1E_S15_S16_S18_S17_S1F_S1G_NST_IJLi22EEEENST_IJLi23ELi24EEEENST_IJLi25EEEEEEENST_IJLi22ELi23ELi24ELi25EEEElEENSB_INS5_IJSR_SP_SP_SR_SG_SG_S2A_S2C_EEENS5_IJSU_SV_SW_SY_SX_SZ_S11_S10_EEENS5_IJS1M_SX_SY_S1N_S11_S12_NST_IJLi9ELi10EEEENST_IJLi11EEEEEEENST_IJLi8ELi9ELi10ELi11EEEElEENS5_IJNSB_INS5_IJSK_SP_SP_NSQ_INS5_IJiNS27_IiLi2EEENS27_IiLi64EEEEEELb0EEES2X_EEENS5_IJSU_SV_SW_SX_SY_EEENS5_IJS1M_SX_SY_NST_IJLi5ELi6ELi7EEEENST_IJLi8ELi9ELi10EEEEEEENST_IJLi5ELi6ELi7ELi8ELi9ELi10EEEElEEEEES34_NS_31BlockToCTileMap_M00_N00_M01_N01ILi128ELi128ES1V_Lb0EEENS1_30ComputePtrOffsetOfStridedBatchILi1ELi1ELi1EvEELb1ELb1EEEvPKT0_S3C_T1_PT2_T3_T4_T5_iT6_T7_T8_T9_T10_T11_
		.amdhsa_group_segment_fixed_size 32768
		.amdhsa_private_segment_fixed_size 0
		.amdhsa_kernarg_size 968
		.amdhsa_user_sgpr_count 2
		.amdhsa_user_sgpr_dispatch_ptr 0
		.amdhsa_user_sgpr_queue_ptr 0
		.amdhsa_user_sgpr_kernarg_segment_ptr 1
		.amdhsa_user_sgpr_dispatch_id 0
		.amdhsa_user_sgpr_private_segment_size 0
		.amdhsa_wavefront_size32 1
		.amdhsa_uses_dynamic_stack 0
		.amdhsa_enable_private_segment 0
		.amdhsa_system_sgpr_workgroup_id_x 1
		.amdhsa_system_sgpr_workgroup_id_y 0
		.amdhsa_system_sgpr_workgroup_id_z 0
		.amdhsa_system_sgpr_workgroup_info 0
		.amdhsa_system_vgpr_workitem_id 0
		.amdhsa_next_free_vgpr 200
		.amdhsa_next_free_sgpr 76
		.amdhsa_reserve_vcc 1
		.amdhsa_float_round_mode_32 0
		.amdhsa_float_round_mode_16_64 0
		.amdhsa_float_denorm_mode_32 3
		.amdhsa_float_denorm_mode_16_64 3
		.amdhsa_fp16_overflow 0
		.amdhsa_workgroup_processor_mode 1
		.amdhsa_memory_ordered 1
		.amdhsa_forward_progress 1
		.amdhsa_inst_pref_size 255
		.amdhsa_round_robin_scheduling 0
		.amdhsa_exception_fp_ieee_invalid_op 0
		.amdhsa_exception_fp_denorm_src 0
		.amdhsa_exception_fp_ieee_div_zero 0
		.amdhsa_exception_fp_ieee_overflow 0
		.amdhsa_exception_fp_ieee_underflow 0
		.amdhsa_exception_fp_ieee_inexact 0
		.amdhsa_exception_int_div_zero 0
	.end_amdhsa_kernel
	.section	.text._ZN2ck16tensor_operation6device12_GLOBAL__N_137kernel_grouped_conv_fwd_dl_multiple_dINS_32GridwiseGemmDlMultipleD_km_kn_mnILi256EaiNS_5TupleIJaEEEaNS0_12element_wise11PassThroughES8_NS7_7AddReluELNS_25InMemoryDataOperationEnumE0ENS_16TensorDescriptorINS5_IJNS_5EmbedINS5_IJiiiiEEESD_Lb0EEENS_11PassThroughIiEENS_3PadIiiiLb0EEESI_SG_SG_NSC_INS5_IJiiEEESJ_Lb0EEESK_SG_NS_23Merge_v2_magic_divisionINS5_IJiiiEEEEESN_NS_8RightPadIiiLb0EEESP_NS_7UnMergeISJ_Lb0EEESG_EEENS5_IJNS_8SequenceIJLi0EEEENST_IJLi1EEEENST_IJLi2EEEENST_IJLi3EEEENST_IJLi4EEEENST_IJLi5EEEENST_IJLi6EEEENST_IJLi7EEEENST_IJLi8EEEENST_IJLi9ELi11ELi13EEEENST_IJLi10ELi12ELi14EEEENST_IJLi15EEEENST_IJLi16EEEENST_IJLi18EEEENST_IJLi17EEEEEEENS5_IJNST_IJLi1ELi2ELi3ELi4EEEESZ_S10_S11_S12_NST_IJLi9EEEENST_IJLi10ELi11EEEENST_IJLi12ELi13EEEENST_IJLi14EEEES15_S16_S18_S17_NST_IJLi19ELi20EEEENST_IJLi21EEEEEEENST_IJLi19ELi21ELi20EEEElEENSB_INS5_IJSR_SP_SP_SR_SG_EEENS5_IJSU_SV_SW_SY_SX_EEENS5_IJNST_IJLi1ELi2EEEESX_SY_NST_IJLi5ELi6EEEES11_EEENST_IJLi5ELi7ELi6EEEElEENSB_INS5_IJSK_SP_SP_EEENS5_IJSU_SV_SW_EEENS5_IJS1M_SX_SY_EEENST_IJLi3ELi4EEEElEELi128ELi128ELi16ELi4ELi4ELi4ELi1ENST_IJLi8ELi2EEEES1W_NST_IJLi8ELi1ELi1ELi4EEEENST_IJLi2ELi1ELi128ELi1EEEENST_IJLi1ELi2ELi0ELi3EEEES1Z_NST_IJLi4ELi1ELi1ELi4EEEES1Z_NST_IJLi1ELi1ELi1ELi4EEEES1X_S1Y_S1Z_S1Z_S20_S1Z_S21_NST_IJLi0ELi1ELi2ELi3ELi4ELi5EEEELi5ELi4EEEaNS5_IJPKaEEEaS8_S8_S9_NSB_INS5_IJSE_SG_SI_SI_SG_SG_SK_SK_SG_SN_SN_SP_SP_SR_SG_SG_NSQ_INS5_IJiNS_17integral_constantIiLi128EEEEEELb0EEENSF_INS27_IiLi4EEEEEEEENS5_IJSU_SV_SW_SX_SY_SZ_S10_S11_S12_S13_S14_S15_S16_S17_S18_NST_IJLi19EEEES1G_NST_IJLi20EEEEEEENS5_IJS1A_SZ_S10_S11_S12_S1B_S1C_S1D_S1E_S15_S16_S18_S17_S1F_S1G_NST_IJLi22EEEENST_IJLi23ELi24EEEENST_IJLi25EEEEEEENST_IJLi22ELi23ELi24ELi25EEEElEENSB_INS5_IJSR_SP_SP_SR_SG_SG_S2A_S2C_EEENS5_IJSU_SV_SW_SY_SX_SZ_S11_S10_EEENS5_IJS1M_SX_SY_S1N_S11_S12_NST_IJLi9ELi10EEEENST_IJLi11EEEEEEENST_IJLi8ELi9ELi10ELi11EEEElEENS5_IJNSB_INS5_IJSK_SP_SP_NSQ_INS5_IJiNS27_IiLi2EEENS27_IiLi64EEEEEELb0EEES2X_EEENS5_IJSU_SV_SW_SX_SY_EEENS5_IJS1M_SX_SY_NST_IJLi5ELi6ELi7EEEENST_IJLi8ELi9ELi10EEEEEEENST_IJLi5ELi6ELi7ELi8ELi9ELi10EEEElEEEEES34_NS_31BlockToCTileMap_M00_N00_M01_N01ILi128ELi128ES1V_Lb0EEENS1_30ComputePtrOffsetOfStridedBatchILi1ELi1ELi1EvEELb1ELb1EEEvPKT0_S3C_T1_PT2_T3_T4_T5_iT6_T7_T8_T9_T10_T11_,"axG",@progbits,_ZN2ck16tensor_operation6device12_GLOBAL__N_137kernel_grouped_conv_fwd_dl_multiple_dINS_32GridwiseGemmDlMultipleD_km_kn_mnILi256EaiNS_5TupleIJaEEEaNS0_12element_wise11PassThroughES8_NS7_7AddReluELNS_25InMemoryDataOperationEnumE0ENS_16TensorDescriptorINS5_IJNS_5EmbedINS5_IJiiiiEEESD_Lb0EEENS_11PassThroughIiEENS_3PadIiiiLb0EEESI_SG_SG_NSC_INS5_IJiiEEESJ_Lb0EEESK_SG_NS_23Merge_v2_magic_divisionINS5_IJiiiEEEEESN_NS_8RightPadIiiLb0EEESP_NS_7UnMergeISJ_Lb0EEESG_EEENS5_IJNS_8SequenceIJLi0EEEENST_IJLi1EEEENST_IJLi2EEEENST_IJLi3EEEENST_IJLi4EEEENST_IJLi5EEEENST_IJLi6EEEENST_IJLi7EEEENST_IJLi8EEEENST_IJLi9ELi11ELi13EEEENST_IJLi10ELi12ELi14EEEENST_IJLi15EEEENST_IJLi16EEEENST_IJLi18EEEENST_IJLi17EEEEEEENS5_IJNST_IJLi1ELi2ELi3ELi4EEEESZ_S10_S11_S12_NST_IJLi9EEEENST_IJLi10ELi11EEEENST_IJLi12ELi13EEEENST_IJLi14EEEES15_S16_S18_S17_NST_IJLi19ELi20EEEENST_IJLi21EEEEEEENST_IJLi19ELi21ELi20EEEElEENSB_INS5_IJSR_SP_SP_SR_SG_EEENS5_IJSU_SV_SW_SY_SX_EEENS5_IJNST_IJLi1ELi2EEEESX_SY_NST_IJLi5ELi6EEEES11_EEENST_IJLi5ELi7ELi6EEEElEENSB_INS5_IJSK_SP_SP_EEENS5_IJSU_SV_SW_EEENS5_IJS1M_SX_SY_EEENST_IJLi3ELi4EEEElEELi128ELi128ELi16ELi4ELi4ELi4ELi1ENST_IJLi8ELi2EEEES1W_NST_IJLi8ELi1ELi1ELi4EEEENST_IJLi2ELi1ELi128ELi1EEEENST_IJLi1ELi2ELi0ELi3EEEES1Z_NST_IJLi4ELi1ELi1ELi4EEEES1Z_NST_IJLi1ELi1ELi1ELi4EEEES1X_S1Y_S1Z_S1Z_S20_S1Z_S21_NST_IJLi0ELi1ELi2ELi3ELi4ELi5EEEELi5ELi4EEEaNS5_IJPKaEEEaS8_S8_S9_NSB_INS5_IJSE_SG_SI_SI_SG_SG_SK_SK_SG_SN_SN_SP_SP_SR_SG_SG_NSQ_INS5_IJiNS_17integral_constantIiLi128EEEEEELb0EEENSF_INS27_IiLi4EEEEEEEENS5_IJSU_SV_SW_SX_SY_SZ_S10_S11_S12_S13_S14_S15_S16_S17_S18_NST_IJLi19EEEES1G_NST_IJLi20EEEEEEENS5_IJS1A_SZ_S10_S11_S12_S1B_S1C_S1D_S1E_S15_S16_S18_S17_S1F_S1G_NST_IJLi22EEEENST_IJLi23ELi24EEEENST_IJLi25EEEEEEENST_IJLi22ELi23ELi24ELi25EEEElEENSB_INS5_IJSR_SP_SP_SR_SG_SG_S2A_S2C_EEENS5_IJSU_SV_SW_SY_SX_SZ_S11_S10_EEENS5_IJS1M_SX_SY_S1N_S11_S12_NST_IJLi9ELi10EEEENST_IJLi11EEEEEEENST_IJLi8ELi9ELi10ELi11EEEElEENS5_IJNSB_INS5_IJSK_SP_SP_NSQ_INS5_IJiNS27_IiLi2EEENS27_IiLi64EEEEEELb0EEES2X_EEENS5_IJSU_SV_SW_SX_SY_EEENS5_IJS1M_SX_SY_NST_IJLi5ELi6ELi7EEEENST_IJLi8ELi9ELi10EEEEEEENST_IJLi5ELi6ELi7ELi8ELi9ELi10EEEElEEEEES34_NS_31BlockToCTileMap_M00_N00_M01_N01ILi128ELi128ES1V_Lb0EEENS1_30ComputePtrOffsetOfStridedBatchILi1ELi1ELi1EvEELb1ELb1EEEvPKT0_S3C_T1_PT2_T3_T4_T5_iT6_T7_T8_T9_T10_T11_,comdat
.Lfunc_end5:
	.size	_ZN2ck16tensor_operation6device12_GLOBAL__N_137kernel_grouped_conv_fwd_dl_multiple_dINS_32GridwiseGemmDlMultipleD_km_kn_mnILi256EaiNS_5TupleIJaEEEaNS0_12element_wise11PassThroughES8_NS7_7AddReluELNS_25InMemoryDataOperationEnumE0ENS_16TensorDescriptorINS5_IJNS_5EmbedINS5_IJiiiiEEESD_Lb0EEENS_11PassThroughIiEENS_3PadIiiiLb0EEESI_SG_SG_NSC_INS5_IJiiEEESJ_Lb0EEESK_SG_NS_23Merge_v2_magic_divisionINS5_IJiiiEEEEESN_NS_8RightPadIiiLb0EEESP_NS_7UnMergeISJ_Lb0EEESG_EEENS5_IJNS_8SequenceIJLi0EEEENST_IJLi1EEEENST_IJLi2EEEENST_IJLi3EEEENST_IJLi4EEEENST_IJLi5EEEENST_IJLi6EEEENST_IJLi7EEEENST_IJLi8EEEENST_IJLi9ELi11ELi13EEEENST_IJLi10ELi12ELi14EEEENST_IJLi15EEEENST_IJLi16EEEENST_IJLi18EEEENST_IJLi17EEEEEEENS5_IJNST_IJLi1ELi2ELi3ELi4EEEESZ_S10_S11_S12_NST_IJLi9EEEENST_IJLi10ELi11EEEENST_IJLi12ELi13EEEENST_IJLi14EEEES15_S16_S18_S17_NST_IJLi19ELi20EEEENST_IJLi21EEEEEEENST_IJLi19ELi21ELi20EEEElEENSB_INS5_IJSR_SP_SP_SR_SG_EEENS5_IJSU_SV_SW_SY_SX_EEENS5_IJNST_IJLi1ELi2EEEESX_SY_NST_IJLi5ELi6EEEES11_EEENST_IJLi5ELi7ELi6EEEElEENSB_INS5_IJSK_SP_SP_EEENS5_IJSU_SV_SW_EEENS5_IJS1M_SX_SY_EEENST_IJLi3ELi4EEEElEELi128ELi128ELi16ELi4ELi4ELi4ELi1ENST_IJLi8ELi2EEEES1W_NST_IJLi8ELi1ELi1ELi4EEEENST_IJLi2ELi1ELi128ELi1EEEENST_IJLi1ELi2ELi0ELi3EEEES1Z_NST_IJLi4ELi1ELi1ELi4EEEES1Z_NST_IJLi1ELi1ELi1ELi4EEEES1X_S1Y_S1Z_S1Z_S20_S1Z_S21_NST_IJLi0ELi1ELi2ELi3ELi4ELi5EEEELi5ELi4EEEaNS5_IJPKaEEEaS8_S8_S9_NSB_INS5_IJSE_SG_SI_SI_SG_SG_SK_SK_SG_SN_SN_SP_SP_SR_SG_SG_NSQ_INS5_IJiNS_17integral_constantIiLi128EEEEEELb0EEENSF_INS27_IiLi4EEEEEEEENS5_IJSU_SV_SW_SX_SY_SZ_S10_S11_S12_S13_S14_S15_S16_S17_S18_NST_IJLi19EEEES1G_NST_IJLi20EEEEEEENS5_IJS1A_SZ_S10_S11_S12_S1B_S1C_S1D_S1E_S15_S16_S18_S17_S1F_S1G_NST_IJLi22EEEENST_IJLi23ELi24EEEENST_IJLi25EEEEEEENST_IJLi22ELi23ELi24ELi25EEEElEENSB_INS5_IJSR_SP_SP_SR_SG_SG_S2A_S2C_EEENS5_IJSU_SV_SW_SY_SX_SZ_S11_S10_EEENS5_IJS1M_SX_SY_S1N_S11_S12_NST_IJLi9ELi10EEEENST_IJLi11EEEEEEENST_IJLi8ELi9ELi10ELi11EEEElEENS5_IJNSB_INS5_IJSK_SP_SP_NSQ_INS5_IJiNS27_IiLi2EEENS27_IiLi64EEEEEELb0EEES2X_EEENS5_IJSU_SV_SW_SX_SY_EEENS5_IJS1M_SX_SY_NST_IJLi5ELi6ELi7EEEENST_IJLi8ELi9ELi10EEEEEEENST_IJLi5ELi6ELi7ELi8ELi9ELi10EEEElEEEEES34_NS_31BlockToCTileMap_M00_N00_M01_N01ILi128ELi128ES1V_Lb0EEENS1_30ComputePtrOffsetOfStridedBatchILi1ELi1ELi1EvEELb1ELb1EEEvPKT0_S3C_T1_PT2_T3_T4_T5_iT6_T7_T8_T9_T10_T11_, .Lfunc_end5-_ZN2ck16tensor_operation6device12_GLOBAL__N_137kernel_grouped_conv_fwd_dl_multiple_dINS_32GridwiseGemmDlMultipleD_km_kn_mnILi256EaiNS_5TupleIJaEEEaNS0_12element_wise11PassThroughES8_NS7_7AddReluELNS_25InMemoryDataOperationEnumE0ENS_16TensorDescriptorINS5_IJNS_5EmbedINS5_IJiiiiEEESD_Lb0EEENS_11PassThroughIiEENS_3PadIiiiLb0EEESI_SG_SG_NSC_INS5_IJiiEEESJ_Lb0EEESK_SG_NS_23Merge_v2_magic_divisionINS5_IJiiiEEEEESN_NS_8RightPadIiiLb0EEESP_NS_7UnMergeISJ_Lb0EEESG_EEENS5_IJNS_8SequenceIJLi0EEEENST_IJLi1EEEENST_IJLi2EEEENST_IJLi3EEEENST_IJLi4EEEENST_IJLi5EEEENST_IJLi6EEEENST_IJLi7EEEENST_IJLi8EEEENST_IJLi9ELi11ELi13EEEENST_IJLi10ELi12ELi14EEEENST_IJLi15EEEENST_IJLi16EEEENST_IJLi18EEEENST_IJLi17EEEEEEENS5_IJNST_IJLi1ELi2ELi3ELi4EEEESZ_S10_S11_S12_NST_IJLi9EEEENST_IJLi10ELi11EEEENST_IJLi12ELi13EEEENST_IJLi14EEEES15_S16_S18_S17_NST_IJLi19ELi20EEEENST_IJLi21EEEEEEENST_IJLi19ELi21ELi20EEEElEENSB_INS5_IJSR_SP_SP_SR_SG_EEENS5_IJSU_SV_SW_SY_SX_EEENS5_IJNST_IJLi1ELi2EEEESX_SY_NST_IJLi5ELi6EEEES11_EEENST_IJLi5ELi7ELi6EEEElEENSB_INS5_IJSK_SP_SP_EEENS5_IJSU_SV_SW_EEENS5_IJS1M_SX_SY_EEENST_IJLi3ELi4EEEElEELi128ELi128ELi16ELi4ELi4ELi4ELi1ENST_IJLi8ELi2EEEES1W_NST_IJLi8ELi1ELi1ELi4EEEENST_IJLi2ELi1ELi128ELi1EEEENST_IJLi1ELi2ELi0ELi3EEEES1Z_NST_IJLi4ELi1ELi1ELi4EEEES1Z_NST_IJLi1ELi1ELi1ELi4EEEES1X_S1Y_S1Z_S1Z_S20_S1Z_S21_NST_IJLi0ELi1ELi2ELi3ELi4ELi5EEEELi5ELi4EEEaNS5_IJPKaEEEaS8_S8_S9_NSB_INS5_IJSE_SG_SI_SI_SG_SG_SK_SK_SG_SN_SN_SP_SP_SR_SG_SG_NSQ_INS5_IJiNS_17integral_constantIiLi128EEEEEELb0EEENSF_INS27_IiLi4EEEEEEEENS5_IJSU_SV_SW_SX_SY_SZ_S10_S11_S12_S13_S14_S15_S16_S17_S18_NST_IJLi19EEEES1G_NST_IJLi20EEEEEEENS5_IJS1A_SZ_S10_S11_S12_S1B_S1C_S1D_S1E_S15_S16_S18_S17_S1F_S1G_NST_IJLi22EEEENST_IJLi23ELi24EEEENST_IJLi25EEEEEEENST_IJLi22ELi23ELi24ELi25EEEElEENSB_INS5_IJSR_SP_SP_SR_SG_SG_S2A_S2C_EEENS5_IJSU_SV_SW_SY_SX_SZ_S11_S10_EEENS5_IJS1M_SX_SY_S1N_S11_S12_NST_IJLi9ELi10EEEENST_IJLi11EEEEEEENST_IJLi8ELi9ELi10ELi11EEEElEENS5_IJNSB_INS5_IJSK_SP_SP_NSQ_INS5_IJiNS27_IiLi2EEENS27_IiLi64EEEEEELb0EEES2X_EEENS5_IJSU_SV_SW_SX_SY_EEENS5_IJS1M_SX_SY_NST_IJLi5ELi6ELi7EEEENST_IJLi8ELi9ELi10EEEEEEENST_IJLi5ELi6ELi7ELi8ELi9ELi10EEEElEEEEES34_NS_31BlockToCTileMap_M00_N00_M01_N01ILi128ELi128ES1V_Lb0EEENS1_30ComputePtrOffsetOfStridedBatchILi1ELi1ELi1EvEELb1ELb1EEEvPKT0_S3C_T1_PT2_T3_T4_T5_iT6_T7_T8_T9_T10_T11_
                                        ; -- End function
	.set _ZN2ck16tensor_operation6device12_GLOBAL__N_137kernel_grouped_conv_fwd_dl_multiple_dINS_32GridwiseGemmDlMultipleD_km_kn_mnILi256EaiNS_5TupleIJaEEEaNS0_12element_wise11PassThroughES8_NS7_7AddReluELNS_25InMemoryDataOperationEnumE0ENS_16TensorDescriptorINS5_IJNS_5EmbedINS5_IJiiiiEEESD_Lb0EEENS_11PassThroughIiEENS_3PadIiiiLb0EEESI_SG_SG_NSC_INS5_IJiiEEESJ_Lb0EEESK_SG_NS_23Merge_v2_magic_divisionINS5_IJiiiEEEEESN_NS_8RightPadIiiLb0EEESP_NS_7UnMergeISJ_Lb0EEESG_EEENS5_IJNS_8SequenceIJLi0EEEENST_IJLi1EEEENST_IJLi2EEEENST_IJLi3EEEENST_IJLi4EEEENST_IJLi5EEEENST_IJLi6EEEENST_IJLi7EEEENST_IJLi8EEEENST_IJLi9ELi11ELi13EEEENST_IJLi10ELi12ELi14EEEENST_IJLi15EEEENST_IJLi16EEEENST_IJLi18EEEENST_IJLi17EEEEEEENS5_IJNST_IJLi1ELi2ELi3ELi4EEEESZ_S10_S11_S12_NST_IJLi9EEEENST_IJLi10ELi11EEEENST_IJLi12ELi13EEEENST_IJLi14EEEES15_S16_S18_S17_NST_IJLi19ELi20EEEENST_IJLi21EEEEEEENST_IJLi19ELi21ELi20EEEElEENSB_INS5_IJSR_SP_SP_SR_SG_EEENS5_IJSU_SV_SW_SY_SX_EEENS5_IJNST_IJLi1ELi2EEEESX_SY_NST_IJLi5ELi6EEEES11_EEENST_IJLi5ELi7ELi6EEEElEENSB_INS5_IJSK_SP_SP_EEENS5_IJSU_SV_SW_EEENS5_IJS1M_SX_SY_EEENST_IJLi3ELi4EEEElEELi128ELi128ELi16ELi4ELi4ELi4ELi1ENST_IJLi8ELi2EEEES1W_NST_IJLi8ELi1ELi1ELi4EEEENST_IJLi2ELi1ELi128ELi1EEEENST_IJLi1ELi2ELi0ELi3EEEES1Z_NST_IJLi4ELi1ELi1ELi4EEEES1Z_NST_IJLi1ELi1ELi1ELi4EEEES1X_S1Y_S1Z_S1Z_S20_S1Z_S21_NST_IJLi0ELi1ELi2ELi3ELi4ELi5EEEELi5ELi4EEEaNS5_IJPKaEEEaS8_S8_S9_NSB_INS5_IJSE_SG_SI_SI_SG_SG_SK_SK_SG_SN_SN_SP_SP_SR_SG_SG_NSQ_INS5_IJiNS_17integral_constantIiLi128EEEEEELb0EEENSF_INS27_IiLi4EEEEEEEENS5_IJSU_SV_SW_SX_SY_SZ_S10_S11_S12_S13_S14_S15_S16_S17_S18_NST_IJLi19EEEES1G_NST_IJLi20EEEEEEENS5_IJS1A_SZ_S10_S11_S12_S1B_S1C_S1D_S1E_S15_S16_S18_S17_S1F_S1G_NST_IJLi22EEEENST_IJLi23ELi24EEEENST_IJLi25EEEEEEENST_IJLi22ELi23ELi24ELi25EEEElEENSB_INS5_IJSR_SP_SP_SR_SG_SG_S2A_S2C_EEENS5_IJSU_SV_SW_SY_SX_SZ_S11_S10_EEENS5_IJS1M_SX_SY_S1N_S11_S12_NST_IJLi9ELi10EEEENST_IJLi11EEEEEEENST_IJLi8ELi9ELi10ELi11EEEElEENS5_IJNSB_INS5_IJSK_SP_SP_NSQ_INS5_IJiNS27_IiLi2EEENS27_IiLi64EEEEEELb0EEES2X_EEENS5_IJSU_SV_SW_SX_SY_EEENS5_IJS1M_SX_SY_NST_IJLi5ELi6ELi7EEEENST_IJLi8ELi9ELi10EEEEEEENST_IJLi5ELi6ELi7ELi8ELi9ELi10EEEElEEEEES34_NS_31BlockToCTileMap_M00_N00_M01_N01ILi128ELi128ES1V_Lb0EEENS1_30ComputePtrOffsetOfStridedBatchILi1ELi1ELi1EvEELb1ELb1EEEvPKT0_S3C_T1_PT2_T3_T4_T5_iT6_T7_T8_T9_T10_T11_.num_vgpr, 200
	.set _ZN2ck16tensor_operation6device12_GLOBAL__N_137kernel_grouped_conv_fwd_dl_multiple_dINS_32GridwiseGemmDlMultipleD_km_kn_mnILi256EaiNS_5TupleIJaEEEaNS0_12element_wise11PassThroughES8_NS7_7AddReluELNS_25InMemoryDataOperationEnumE0ENS_16TensorDescriptorINS5_IJNS_5EmbedINS5_IJiiiiEEESD_Lb0EEENS_11PassThroughIiEENS_3PadIiiiLb0EEESI_SG_SG_NSC_INS5_IJiiEEESJ_Lb0EEESK_SG_NS_23Merge_v2_magic_divisionINS5_IJiiiEEEEESN_NS_8RightPadIiiLb0EEESP_NS_7UnMergeISJ_Lb0EEESG_EEENS5_IJNS_8SequenceIJLi0EEEENST_IJLi1EEEENST_IJLi2EEEENST_IJLi3EEEENST_IJLi4EEEENST_IJLi5EEEENST_IJLi6EEEENST_IJLi7EEEENST_IJLi8EEEENST_IJLi9ELi11ELi13EEEENST_IJLi10ELi12ELi14EEEENST_IJLi15EEEENST_IJLi16EEEENST_IJLi18EEEENST_IJLi17EEEEEEENS5_IJNST_IJLi1ELi2ELi3ELi4EEEESZ_S10_S11_S12_NST_IJLi9EEEENST_IJLi10ELi11EEEENST_IJLi12ELi13EEEENST_IJLi14EEEES15_S16_S18_S17_NST_IJLi19ELi20EEEENST_IJLi21EEEEEEENST_IJLi19ELi21ELi20EEEElEENSB_INS5_IJSR_SP_SP_SR_SG_EEENS5_IJSU_SV_SW_SY_SX_EEENS5_IJNST_IJLi1ELi2EEEESX_SY_NST_IJLi5ELi6EEEES11_EEENST_IJLi5ELi7ELi6EEEElEENSB_INS5_IJSK_SP_SP_EEENS5_IJSU_SV_SW_EEENS5_IJS1M_SX_SY_EEENST_IJLi3ELi4EEEElEELi128ELi128ELi16ELi4ELi4ELi4ELi1ENST_IJLi8ELi2EEEES1W_NST_IJLi8ELi1ELi1ELi4EEEENST_IJLi2ELi1ELi128ELi1EEEENST_IJLi1ELi2ELi0ELi3EEEES1Z_NST_IJLi4ELi1ELi1ELi4EEEES1Z_NST_IJLi1ELi1ELi1ELi4EEEES1X_S1Y_S1Z_S1Z_S20_S1Z_S21_NST_IJLi0ELi1ELi2ELi3ELi4ELi5EEEELi5ELi4EEEaNS5_IJPKaEEEaS8_S8_S9_NSB_INS5_IJSE_SG_SI_SI_SG_SG_SK_SK_SG_SN_SN_SP_SP_SR_SG_SG_NSQ_INS5_IJiNS_17integral_constantIiLi128EEEEEELb0EEENSF_INS27_IiLi4EEEEEEEENS5_IJSU_SV_SW_SX_SY_SZ_S10_S11_S12_S13_S14_S15_S16_S17_S18_NST_IJLi19EEEES1G_NST_IJLi20EEEEEEENS5_IJS1A_SZ_S10_S11_S12_S1B_S1C_S1D_S1E_S15_S16_S18_S17_S1F_S1G_NST_IJLi22EEEENST_IJLi23ELi24EEEENST_IJLi25EEEEEEENST_IJLi22ELi23ELi24ELi25EEEElEENSB_INS5_IJSR_SP_SP_SR_SG_SG_S2A_S2C_EEENS5_IJSU_SV_SW_SY_SX_SZ_S11_S10_EEENS5_IJS1M_SX_SY_S1N_S11_S12_NST_IJLi9ELi10EEEENST_IJLi11EEEEEEENST_IJLi8ELi9ELi10ELi11EEEElEENS5_IJNSB_INS5_IJSK_SP_SP_NSQ_INS5_IJiNS27_IiLi2EEENS27_IiLi64EEEEEELb0EEES2X_EEENS5_IJSU_SV_SW_SX_SY_EEENS5_IJS1M_SX_SY_NST_IJLi5ELi6ELi7EEEENST_IJLi8ELi9ELi10EEEEEEENST_IJLi5ELi6ELi7ELi8ELi9ELi10EEEElEEEEES34_NS_31BlockToCTileMap_M00_N00_M01_N01ILi128ELi128ES1V_Lb0EEENS1_30ComputePtrOffsetOfStridedBatchILi1ELi1ELi1EvEELb1ELb1EEEvPKT0_S3C_T1_PT2_T3_T4_T5_iT6_T7_T8_T9_T10_T11_.num_agpr, 0
	.set _ZN2ck16tensor_operation6device12_GLOBAL__N_137kernel_grouped_conv_fwd_dl_multiple_dINS_32GridwiseGemmDlMultipleD_km_kn_mnILi256EaiNS_5TupleIJaEEEaNS0_12element_wise11PassThroughES8_NS7_7AddReluELNS_25InMemoryDataOperationEnumE0ENS_16TensorDescriptorINS5_IJNS_5EmbedINS5_IJiiiiEEESD_Lb0EEENS_11PassThroughIiEENS_3PadIiiiLb0EEESI_SG_SG_NSC_INS5_IJiiEEESJ_Lb0EEESK_SG_NS_23Merge_v2_magic_divisionINS5_IJiiiEEEEESN_NS_8RightPadIiiLb0EEESP_NS_7UnMergeISJ_Lb0EEESG_EEENS5_IJNS_8SequenceIJLi0EEEENST_IJLi1EEEENST_IJLi2EEEENST_IJLi3EEEENST_IJLi4EEEENST_IJLi5EEEENST_IJLi6EEEENST_IJLi7EEEENST_IJLi8EEEENST_IJLi9ELi11ELi13EEEENST_IJLi10ELi12ELi14EEEENST_IJLi15EEEENST_IJLi16EEEENST_IJLi18EEEENST_IJLi17EEEEEEENS5_IJNST_IJLi1ELi2ELi3ELi4EEEESZ_S10_S11_S12_NST_IJLi9EEEENST_IJLi10ELi11EEEENST_IJLi12ELi13EEEENST_IJLi14EEEES15_S16_S18_S17_NST_IJLi19ELi20EEEENST_IJLi21EEEEEEENST_IJLi19ELi21ELi20EEEElEENSB_INS5_IJSR_SP_SP_SR_SG_EEENS5_IJSU_SV_SW_SY_SX_EEENS5_IJNST_IJLi1ELi2EEEESX_SY_NST_IJLi5ELi6EEEES11_EEENST_IJLi5ELi7ELi6EEEElEENSB_INS5_IJSK_SP_SP_EEENS5_IJSU_SV_SW_EEENS5_IJS1M_SX_SY_EEENST_IJLi3ELi4EEEElEELi128ELi128ELi16ELi4ELi4ELi4ELi1ENST_IJLi8ELi2EEEES1W_NST_IJLi8ELi1ELi1ELi4EEEENST_IJLi2ELi1ELi128ELi1EEEENST_IJLi1ELi2ELi0ELi3EEEES1Z_NST_IJLi4ELi1ELi1ELi4EEEES1Z_NST_IJLi1ELi1ELi1ELi4EEEES1X_S1Y_S1Z_S1Z_S20_S1Z_S21_NST_IJLi0ELi1ELi2ELi3ELi4ELi5EEEELi5ELi4EEEaNS5_IJPKaEEEaS8_S8_S9_NSB_INS5_IJSE_SG_SI_SI_SG_SG_SK_SK_SG_SN_SN_SP_SP_SR_SG_SG_NSQ_INS5_IJiNS_17integral_constantIiLi128EEEEEELb0EEENSF_INS27_IiLi4EEEEEEEENS5_IJSU_SV_SW_SX_SY_SZ_S10_S11_S12_S13_S14_S15_S16_S17_S18_NST_IJLi19EEEES1G_NST_IJLi20EEEEEEENS5_IJS1A_SZ_S10_S11_S12_S1B_S1C_S1D_S1E_S15_S16_S18_S17_S1F_S1G_NST_IJLi22EEEENST_IJLi23ELi24EEEENST_IJLi25EEEEEEENST_IJLi22ELi23ELi24ELi25EEEElEENSB_INS5_IJSR_SP_SP_SR_SG_SG_S2A_S2C_EEENS5_IJSU_SV_SW_SY_SX_SZ_S11_S10_EEENS5_IJS1M_SX_SY_S1N_S11_S12_NST_IJLi9ELi10EEEENST_IJLi11EEEEEEENST_IJLi8ELi9ELi10ELi11EEEElEENS5_IJNSB_INS5_IJSK_SP_SP_NSQ_INS5_IJiNS27_IiLi2EEENS27_IiLi64EEEEEELb0EEES2X_EEENS5_IJSU_SV_SW_SX_SY_EEENS5_IJS1M_SX_SY_NST_IJLi5ELi6ELi7EEEENST_IJLi8ELi9ELi10EEEEEEENST_IJLi5ELi6ELi7ELi8ELi9ELi10EEEElEEEEES34_NS_31BlockToCTileMap_M00_N00_M01_N01ILi128ELi128ES1V_Lb0EEENS1_30ComputePtrOffsetOfStridedBatchILi1ELi1ELi1EvEELb1ELb1EEEvPKT0_S3C_T1_PT2_T3_T4_T5_iT6_T7_T8_T9_T10_T11_.numbered_sgpr, 76
	.set _ZN2ck16tensor_operation6device12_GLOBAL__N_137kernel_grouped_conv_fwd_dl_multiple_dINS_32GridwiseGemmDlMultipleD_km_kn_mnILi256EaiNS_5TupleIJaEEEaNS0_12element_wise11PassThroughES8_NS7_7AddReluELNS_25InMemoryDataOperationEnumE0ENS_16TensorDescriptorINS5_IJNS_5EmbedINS5_IJiiiiEEESD_Lb0EEENS_11PassThroughIiEENS_3PadIiiiLb0EEESI_SG_SG_NSC_INS5_IJiiEEESJ_Lb0EEESK_SG_NS_23Merge_v2_magic_divisionINS5_IJiiiEEEEESN_NS_8RightPadIiiLb0EEESP_NS_7UnMergeISJ_Lb0EEESG_EEENS5_IJNS_8SequenceIJLi0EEEENST_IJLi1EEEENST_IJLi2EEEENST_IJLi3EEEENST_IJLi4EEEENST_IJLi5EEEENST_IJLi6EEEENST_IJLi7EEEENST_IJLi8EEEENST_IJLi9ELi11ELi13EEEENST_IJLi10ELi12ELi14EEEENST_IJLi15EEEENST_IJLi16EEEENST_IJLi18EEEENST_IJLi17EEEEEEENS5_IJNST_IJLi1ELi2ELi3ELi4EEEESZ_S10_S11_S12_NST_IJLi9EEEENST_IJLi10ELi11EEEENST_IJLi12ELi13EEEENST_IJLi14EEEES15_S16_S18_S17_NST_IJLi19ELi20EEEENST_IJLi21EEEEEEENST_IJLi19ELi21ELi20EEEElEENSB_INS5_IJSR_SP_SP_SR_SG_EEENS5_IJSU_SV_SW_SY_SX_EEENS5_IJNST_IJLi1ELi2EEEESX_SY_NST_IJLi5ELi6EEEES11_EEENST_IJLi5ELi7ELi6EEEElEENSB_INS5_IJSK_SP_SP_EEENS5_IJSU_SV_SW_EEENS5_IJS1M_SX_SY_EEENST_IJLi3ELi4EEEElEELi128ELi128ELi16ELi4ELi4ELi4ELi1ENST_IJLi8ELi2EEEES1W_NST_IJLi8ELi1ELi1ELi4EEEENST_IJLi2ELi1ELi128ELi1EEEENST_IJLi1ELi2ELi0ELi3EEEES1Z_NST_IJLi4ELi1ELi1ELi4EEEES1Z_NST_IJLi1ELi1ELi1ELi4EEEES1X_S1Y_S1Z_S1Z_S20_S1Z_S21_NST_IJLi0ELi1ELi2ELi3ELi4ELi5EEEELi5ELi4EEEaNS5_IJPKaEEEaS8_S8_S9_NSB_INS5_IJSE_SG_SI_SI_SG_SG_SK_SK_SG_SN_SN_SP_SP_SR_SG_SG_NSQ_INS5_IJiNS_17integral_constantIiLi128EEEEEELb0EEENSF_INS27_IiLi4EEEEEEEENS5_IJSU_SV_SW_SX_SY_SZ_S10_S11_S12_S13_S14_S15_S16_S17_S18_NST_IJLi19EEEES1G_NST_IJLi20EEEEEEENS5_IJS1A_SZ_S10_S11_S12_S1B_S1C_S1D_S1E_S15_S16_S18_S17_S1F_S1G_NST_IJLi22EEEENST_IJLi23ELi24EEEENST_IJLi25EEEEEEENST_IJLi22ELi23ELi24ELi25EEEElEENSB_INS5_IJSR_SP_SP_SR_SG_SG_S2A_S2C_EEENS5_IJSU_SV_SW_SY_SX_SZ_S11_S10_EEENS5_IJS1M_SX_SY_S1N_S11_S12_NST_IJLi9ELi10EEEENST_IJLi11EEEEEEENST_IJLi8ELi9ELi10ELi11EEEElEENS5_IJNSB_INS5_IJSK_SP_SP_NSQ_INS5_IJiNS27_IiLi2EEENS27_IiLi64EEEEEELb0EEES2X_EEENS5_IJSU_SV_SW_SX_SY_EEENS5_IJS1M_SX_SY_NST_IJLi5ELi6ELi7EEEENST_IJLi8ELi9ELi10EEEEEEENST_IJLi5ELi6ELi7ELi8ELi9ELi10EEEElEEEEES34_NS_31BlockToCTileMap_M00_N00_M01_N01ILi128ELi128ES1V_Lb0EEENS1_30ComputePtrOffsetOfStridedBatchILi1ELi1ELi1EvEELb1ELb1EEEvPKT0_S3C_T1_PT2_T3_T4_T5_iT6_T7_T8_T9_T10_T11_.num_named_barrier, 0
	.set _ZN2ck16tensor_operation6device12_GLOBAL__N_137kernel_grouped_conv_fwd_dl_multiple_dINS_32GridwiseGemmDlMultipleD_km_kn_mnILi256EaiNS_5TupleIJaEEEaNS0_12element_wise11PassThroughES8_NS7_7AddReluELNS_25InMemoryDataOperationEnumE0ENS_16TensorDescriptorINS5_IJNS_5EmbedINS5_IJiiiiEEESD_Lb0EEENS_11PassThroughIiEENS_3PadIiiiLb0EEESI_SG_SG_NSC_INS5_IJiiEEESJ_Lb0EEESK_SG_NS_23Merge_v2_magic_divisionINS5_IJiiiEEEEESN_NS_8RightPadIiiLb0EEESP_NS_7UnMergeISJ_Lb0EEESG_EEENS5_IJNS_8SequenceIJLi0EEEENST_IJLi1EEEENST_IJLi2EEEENST_IJLi3EEEENST_IJLi4EEEENST_IJLi5EEEENST_IJLi6EEEENST_IJLi7EEEENST_IJLi8EEEENST_IJLi9ELi11ELi13EEEENST_IJLi10ELi12ELi14EEEENST_IJLi15EEEENST_IJLi16EEEENST_IJLi18EEEENST_IJLi17EEEEEEENS5_IJNST_IJLi1ELi2ELi3ELi4EEEESZ_S10_S11_S12_NST_IJLi9EEEENST_IJLi10ELi11EEEENST_IJLi12ELi13EEEENST_IJLi14EEEES15_S16_S18_S17_NST_IJLi19ELi20EEEENST_IJLi21EEEEEEENST_IJLi19ELi21ELi20EEEElEENSB_INS5_IJSR_SP_SP_SR_SG_EEENS5_IJSU_SV_SW_SY_SX_EEENS5_IJNST_IJLi1ELi2EEEESX_SY_NST_IJLi5ELi6EEEES11_EEENST_IJLi5ELi7ELi6EEEElEENSB_INS5_IJSK_SP_SP_EEENS5_IJSU_SV_SW_EEENS5_IJS1M_SX_SY_EEENST_IJLi3ELi4EEEElEELi128ELi128ELi16ELi4ELi4ELi4ELi1ENST_IJLi8ELi2EEEES1W_NST_IJLi8ELi1ELi1ELi4EEEENST_IJLi2ELi1ELi128ELi1EEEENST_IJLi1ELi2ELi0ELi3EEEES1Z_NST_IJLi4ELi1ELi1ELi4EEEES1Z_NST_IJLi1ELi1ELi1ELi4EEEES1X_S1Y_S1Z_S1Z_S20_S1Z_S21_NST_IJLi0ELi1ELi2ELi3ELi4ELi5EEEELi5ELi4EEEaNS5_IJPKaEEEaS8_S8_S9_NSB_INS5_IJSE_SG_SI_SI_SG_SG_SK_SK_SG_SN_SN_SP_SP_SR_SG_SG_NSQ_INS5_IJiNS_17integral_constantIiLi128EEEEEELb0EEENSF_INS27_IiLi4EEEEEEEENS5_IJSU_SV_SW_SX_SY_SZ_S10_S11_S12_S13_S14_S15_S16_S17_S18_NST_IJLi19EEEES1G_NST_IJLi20EEEEEEENS5_IJS1A_SZ_S10_S11_S12_S1B_S1C_S1D_S1E_S15_S16_S18_S17_S1F_S1G_NST_IJLi22EEEENST_IJLi23ELi24EEEENST_IJLi25EEEEEEENST_IJLi22ELi23ELi24ELi25EEEElEENSB_INS5_IJSR_SP_SP_SR_SG_SG_S2A_S2C_EEENS5_IJSU_SV_SW_SY_SX_SZ_S11_S10_EEENS5_IJS1M_SX_SY_S1N_S11_S12_NST_IJLi9ELi10EEEENST_IJLi11EEEEEEENST_IJLi8ELi9ELi10ELi11EEEElEENS5_IJNSB_INS5_IJSK_SP_SP_NSQ_INS5_IJiNS27_IiLi2EEENS27_IiLi64EEEEEELb0EEES2X_EEENS5_IJSU_SV_SW_SX_SY_EEENS5_IJS1M_SX_SY_NST_IJLi5ELi6ELi7EEEENST_IJLi8ELi9ELi10EEEEEEENST_IJLi5ELi6ELi7ELi8ELi9ELi10EEEElEEEEES34_NS_31BlockToCTileMap_M00_N00_M01_N01ILi128ELi128ES1V_Lb0EEENS1_30ComputePtrOffsetOfStridedBatchILi1ELi1ELi1EvEELb1ELb1EEEvPKT0_S3C_T1_PT2_T3_T4_T5_iT6_T7_T8_T9_T10_T11_.private_seg_size, 0
	.set _ZN2ck16tensor_operation6device12_GLOBAL__N_137kernel_grouped_conv_fwd_dl_multiple_dINS_32GridwiseGemmDlMultipleD_km_kn_mnILi256EaiNS_5TupleIJaEEEaNS0_12element_wise11PassThroughES8_NS7_7AddReluELNS_25InMemoryDataOperationEnumE0ENS_16TensorDescriptorINS5_IJNS_5EmbedINS5_IJiiiiEEESD_Lb0EEENS_11PassThroughIiEENS_3PadIiiiLb0EEESI_SG_SG_NSC_INS5_IJiiEEESJ_Lb0EEESK_SG_NS_23Merge_v2_magic_divisionINS5_IJiiiEEEEESN_NS_8RightPadIiiLb0EEESP_NS_7UnMergeISJ_Lb0EEESG_EEENS5_IJNS_8SequenceIJLi0EEEENST_IJLi1EEEENST_IJLi2EEEENST_IJLi3EEEENST_IJLi4EEEENST_IJLi5EEEENST_IJLi6EEEENST_IJLi7EEEENST_IJLi8EEEENST_IJLi9ELi11ELi13EEEENST_IJLi10ELi12ELi14EEEENST_IJLi15EEEENST_IJLi16EEEENST_IJLi18EEEENST_IJLi17EEEEEEENS5_IJNST_IJLi1ELi2ELi3ELi4EEEESZ_S10_S11_S12_NST_IJLi9EEEENST_IJLi10ELi11EEEENST_IJLi12ELi13EEEENST_IJLi14EEEES15_S16_S18_S17_NST_IJLi19ELi20EEEENST_IJLi21EEEEEEENST_IJLi19ELi21ELi20EEEElEENSB_INS5_IJSR_SP_SP_SR_SG_EEENS5_IJSU_SV_SW_SY_SX_EEENS5_IJNST_IJLi1ELi2EEEESX_SY_NST_IJLi5ELi6EEEES11_EEENST_IJLi5ELi7ELi6EEEElEENSB_INS5_IJSK_SP_SP_EEENS5_IJSU_SV_SW_EEENS5_IJS1M_SX_SY_EEENST_IJLi3ELi4EEEElEELi128ELi128ELi16ELi4ELi4ELi4ELi1ENST_IJLi8ELi2EEEES1W_NST_IJLi8ELi1ELi1ELi4EEEENST_IJLi2ELi1ELi128ELi1EEEENST_IJLi1ELi2ELi0ELi3EEEES1Z_NST_IJLi4ELi1ELi1ELi4EEEES1Z_NST_IJLi1ELi1ELi1ELi4EEEES1X_S1Y_S1Z_S1Z_S20_S1Z_S21_NST_IJLi0ELi1ELi2ELi3ELi4ELi5EEEELi5ELi4EEEaNS5_IJPKaEEEaS8_S8_S9_NSB_INS5_IJSE_SG_SI_SI_SG_SG_SK_SK_SG_SN_SN_SP_SP_SR_SG_SG_NSQ_INS5_IJiNS_17integral_constantIiLi128EEEEEELb0EEENSF_INS27_IiLi4EEEEEEEENS5_IJSU_SV_SW_SX_SY_SZ_S10_S11_S12_S13_S14_S15_S16_S17_S18_NST_IJLi19EEEES1G_NST_IJLi20EEEEEEENS5_IJS1A_SZ_S10_S11_S12_S1B_S1C_S1D_S1E_S15_S16_S18_S17_S1F_S1G_NST_IJLi22EEEENST_IJLi23ELi24EEEENST_IJLi25EEEEEEENST_IJLi22ELi23ELi24ELi25EEEElEENSB_INS5_IJSR_SP_SP_SR_SG_SG_S2A_S2C_EEENS5_IJSU_SV_SW_SY_SX_SZ_S11_S10_EEENS5_IJS1M_SX_SY_S1N_S11_S12_NST_IJLi9ELi10EEEENST_IJLi11EEEEEEENST_IJLi8ELi9ELi10ELi11EEEElEENS5_IJNSB_INS5_IJSK_SP_SP_NSQ_INS5_IJiNS27_IiLi2EEENS27_IiLi64EEEEEELb0EEES2X_EEENS5_IJSU_SV_SW_SX_SY_EEENS5_IJS1M_SX_SY_NST_IJLi5ELi6ELi7EEEENST_IJLi8ELi9ELi10EEEEEEENST_IJLi5ELi6ELi7ELi8ELi9ELi10EEEElEEEEES34_NS_31BlockToCTileMap_M00_N00_M01_N01ILi128ELi128ES1V_Lb0EEENS1_30ComputePtrOffsetOfStridedBatchILi1ELi1ELi1EvEELb1ELb1EEEvPKT0_S3C_T1_PT2_T3_T4_T5_iT6_T7_T8_T9_T10_T11_.uses_vcc, 1
	.set _ZN2ck16tensor_operation6device12_GLOBAL__N_137kernel_grouped_conv_fwd_dl_multiple_dINS_32GridwiseGemmDlMultipleD_km_kn_mnILi256EaiNS_5TupleIJaEEEaNS0_12element_wise11PassThroughES8_NS7_7AddReluELNS_25InMemoryDataOperationEnumE0ENS_16TensorDescriptorINS5_IJNS_5EmbedINS5_IJiiiiEEESD_Lb0EEENS_11PassThroughIiEENS_3PadIiiiLb0EEESI_SG_SG_NSC_INS5_IJiiEEESJ_Lb0EEESK_SG_NS_23Merge_v2_magic_divisionINS5_IJiiiEEEEESN_NS_8RightPadIiiLb0EEESP_NS_7UnMergeISJ_Lb0EEESG_EEENS5_IJNS_8SequenceIJLi0EEEENST_IJLi1EEEENST_IJLi2EEEENST_IJLi3EEEENST_IJLi4EEEENST_IJLi5EEEENST_IJLi6EEEENST_IJLi7EEEENST_IJLi8EEEENST_IJLi9ELi11ELi13EEEENST_IJLi10ELi12ELi14EEEENST_IJLi15EEEENST_IJLi16EEEENST_IJLi18EEEENST_IJLi17EEEEEEENS5_IJNST_IJLi1ELi2ELi3ELi4EEEESZ_S10_S11_S12_NST_IJLi9EEEENST_IJLi10ELi11EEEENST_IJLi12ELi13EEEENST_IJLi14EEEES15_S16_S18_S17_NST_IJLi19ELi20EEEENST_IJLi21EEEEEEENST_IJLi19ELi21ELi20EEEElEENSB_INS5_IJSR_SP_SP_SR_SG_EEENS5_IJSU_SV_SW_SY_SX_EEENS5_IJNST_IJLi1ELi2EEEESX_SY_NST_IJLi5ELi6EEEES11_EEENST_IJLi5ELi7ELi6EEEElEENSB_INS5_IJSK_SP_SP_EEENS5_IJSU_SV_SW_EEENS5_IJS1M_SX_SY_EEENST_IJLi3ELi4EEEElEELi128ELi128ELi16ELi4ELi4ELi4ELi1ENST_IJLi8ELi2EEEES1W_NST_IJLi8ELi1ELi1ELi4EEEENST_IJLi2ELi1ELi128ELi1EEEENST_IJLi1ELi2ELi0ELi3EEEES1Z_NST_IJLi4ELi1ELi1ELi4EEEES1Z_NST_IJLi1ELi1ELi1ELi4EEEES1X_S1Y_S1Z_S1Z_S20_S1Z_S21_NST_IJLi0ELi1ELi2ELi3ELi4ELi5EEEELi5ELi4EEEaNS5_IJPKaEEEaS8_S8_S9_NSB_INS5_IJSE_SG_SI_SI_SG_SG_SK_SK_SG_SN_SN_SP_SP_SR_SG_SG_NSQ_INS5_IJiNS_17integral_constantIiLi128EEEEEELb0EEENSF_INS27_IiLi4EEEEEEEENS5_IJSU_SV_SW_SX_SY_SZ_S10_S11_S12_S13_S14_S15_S16_S17_S18_NST_IJLi19EEEES1G_NST_IJLi20EEEEEEENS5_IJS1A_SZ_S10_S11_S12_S1B_S1C_S1D_S1E_S15_S16_S18_S17_S1F_S1G_NST_IJLi22EEEENST_IJLi23ELi24EEEENST_IJLi25EEEEEEENST_IJLi22ELi23ELi24ELi25EEEElEENSB_INS5_IJSR_SP_SP_SR_SG_SG_S2A_S2C_EEENS5_IJSU_SV_SW_SY_SX_SZ_S11_S10_EEENS5_IJS1M_SX_SY_S1N_S11_S12_NST_IJLi9ELi10EEEENST_IJLi11EEEEEEENST_IJLi8ELi9ELi10ELi11EEEElEENS5_IJNSB_INS5_IJSK_SP_SP_NSQ_INS5_IJiNS27_IiLi2EEENS27_IiLi64EEEEEELb0EEES2X_EEENS5_IJSU_SV_SW_SX_SY_EEENS5_IJS1M_SX_SY_NST_IJLi5ELi6ELi7EEEENST_IJLi8ELi9ELi10EEEEEEENST_IJLi5ELi6ELi7ELi8ELi9ELi10EEEElEEEEES34_NS_31BlockToCTileMap_M00_N00_M01_N01ILi128ELi128ES1V_Lb0EEENS1_30ComputePtrOffsetOfStridedBatchILi1ELi1ELi1EvEELb1ELb1EEEvPKT0_S3C_T1_PT2_T3_T4_T5_iT6_T7_T8_T9_T10_T11_.uses_flat_scratch, 0
	.set _ZN2ck16tensor_operation6device12_GLOBAL__N_137kernel_grouped_conv_fwd_dl_multiple_dINS_32GridwiseGemmDlMultipleD_km_kn_mnILi256EaiNS_5TupleIJaEEEaNS0_12element_wise11PassThroughES8_NS7_7AddReluELNS_25InMemoryDataOperationEnumE0ENS_16TensorDescriptorINS5_IJNS_5EmbedINS5_IJiiiiEEESD_Lb0EEENS_11PassThroughIiEENS_3PadIiiiLb0EEESI_SG_SG_NSC_INS5_IJiiEEESJ_Lb0EEESK_SG_NS_23Merge_v2_magic_divisionINS5_IJiiiEEEEESN_NS_8RightPadIiiLb0EEESP_NS_7UnMergeISJ_Lb0EEESG_EEENS5_IJNS_8SequenceIJLi0EEEENST_IJLi1EEEENST_IJLi2EEEENST_IJLi3EEEENST_IJLi4EEEENST_IJLi5EEEENST_IJLi6EEEENST_IJLi7EEEENST_IJLi8EEEENST_IJLi9ELi11ELi13EEEENST_IJLi10ELi12ELi14EEEENST_IJLi15EEEENST_IJLi16EEEENST_IJLi18EEEENST_IJLi17EEEEEEENS5_IJNST_IJLi1ELi2ELi3ELi4EEEESZ_S10_S11_S12_NST_IJLi9EEEENST_IJLi10ELi11EEEENST_IJLi12ELi13EEEENST_IJLi14EEEES15_S16_S18_S17_NST_IJLi19ELi20EEEENST_IJLi21EEEEEEENST_IJLi19ELi21ELi20EEEElEENSB_INS5_IJSR_SP_SP_SR_SG_EEENS5_IJSU_SV_SW_SY_SX_EEENS5_IJNST_IJLi1ELi2EEEESX_SY_NST_IJLi5ELi6EEEES11_EEENST_IJLi5ELi7ELi6EEEElEENSB_INS5_IJSK_SP_SP_EEENS5_IJSU_SV_SW_EEENS5_IJS1M_SX_SY_EEENST_IJLi3ELi4EEEElEELi128ELi128ELi16ELi4ELi4ELi4ELi1ENST_IJLi8ELi2EEEES1W_NST_IJLi8ELi1ELi1ELi4EEEENST_IJLi2ELi1ELi128ELi1EEEENST_IJLi1ELi2ELi0ELi3EEEES1Z_NST_IJLi4ELi1ELi1ELi4EEEES1Z_NST_IJLi1ELi1ELi1ELi4EEEES1X_S1Y_S1Z_S1Z_S20_S1Z_S21_NST_IJLi0ELi1ELi2ELi3ELi4ELi5EEEELi5ELi4EEEaNS5_IJPKaEEEaS8_S8_S9_NSB_INS5_IJSE_SG_SI_SI_SG_SG_SK_SK_SG_SN_SN_SP_SP_SR_SG_SG_NSQ_INS5_IJiNS_17integral_constantIiLi128EEEEEELb0EEENSF_INS27_IiLi4EEEEEEEENS5_IJSU_SV_SW_SX_SY_SZ_S10_S11_S12_S13_S14_S15_S16_S17_S18_NST_IJLi19EEEES1G_NST_IJLi20EEEEEEENS5_IJS1A_SZ_S10_S11_S12_S1B_S1C_S1D_S1E_S15_S16_S18_S17_S1F_S1G_NST_IJLi22EEEENST_IJLi23ELi24EEEENST_IJLi25EEEEEEENST_IJLi22ELi23ELi24ELi25EEEElEENSB_INS5_IJSR_SP_SP_SR_SG_SG_S2A_S2C_EEENS5_IJSU_SV_SW_SY_SX_SZ_S11_S10_EEENS5_IJS1M_SX_SY_S1N_S11_S12_NST_IJLi9ELi10EEEENST_IJLi11EEEEEEENST_IJLi8ELi9ELi10ELi11EEEElEENS5_IJNSB_INS5_IJSK_SP_SP_NSQ_INS5_IJiNS27_IiLi2EEENS27_IiLi64EEEEEELb0EEES2X_EEENS5_IJSU_SV_SW_SX_SY_EEENS5_IJS1M_SX_SY_NST_IJLi5ELi6ELi7EEEENST_IJLi8ELi9ELi10EEEEEEENST_IJLi5ELi6ELi7ELi8ELi9ELi10EEEElEEEEES34_NS_31BlockToCTileMap_M00_N00_M01_N01ILi128ELi128ES1V_Lb0EEENS1_30ComputePtrOffsetOfStridedBatchILi1ELi1ELi1EvEELb1ELb1EEEvPKT0_S3C_T1_PT2_T3_T4_T5_iT6_T7_T8_T9_T10_T11_.has_dyn_sized_stack, 0
	.set _ZN2ck16tensor_operation6device12_GLOBAL__N_137kernel_grouped_conv_fwd_dl_multiple_dINS_32GridwiseGemmDlMultipleD_km_kn_mnILi256EaiNS_5TupleIJaEEEaNS0_12element_wise11PassThroughES8_NS7_7AddReluELNS_25InMemoryDataOperationEnumE0ENS_16TensorDescriptorINS5_IJNS_5EmbedINS5_IJiiiiEEESD_Lb0EEENS_11PassThroughIiEENS_3PadIiiiLb0EEESI_SG_SG_NSC_INS5_IJiiEEESJ_Lb0EEESK_SG_NS_23Merge_v2_magic_divisionINS5_IJiiiEEEEESN_NS_8RightPadIiiLb0EEESP_NS_7UnMergeISJ_Lb0EEESG_EEENS5_IJNS_8SequenceIJLi0EEEENST_IJLi1EEEENST_IJLi2EEEENST_IJLi3EEEENST_IJLi4EEEENST_IJLi5EEEENST_IJLi6EEEENST_IJLi7EEEENST_IJLi8EEEENST_IJLi9ELi11ELi13EEEENST_IJLi10ELi12ELi14EEEENST_IJLi15EEEENST_IJLi16EEEENST_IJLi18EEEENST_IJLi17EEEEEEENS5_IJNST_IJLi1ELi2ELi3ELi4EEEESZ_S10_S11_S12_NST_IJLi9EEEENST_IJLi10ELi11EEEENST_IJLi12ELi13EEEENST_IJLi14EEEES15_S16_S18_S17_NST_IJLi19ELi20EEEENST_IJLi21EEEEEEENST_IJLi19ELi21ELi20EEEElEENSB_INS5_IJSR_SP_SP_SR_SG_EEENS5_IJSU_SV_SW_SY_SX_EEENS5_IJNST_IJLi1ELi2EEEESX_SY_NST_IJLi5ELi6EEEES11_EEENST_IJLi5ELi7ELi6EEEElEENSB_INS5_IJSK_SP_SP_EEENS5_IJSU_SV_SW_EEENS5_IJS1M_SX_SY_EEENST_IJLi3ELi4EEEElEELi128ELi128ELi16ELi4ELi4ELi4ELi1ENST_IJLi8ELi2EEEES1W_NST_IJLi8ELi1ELi1ELi4EEEENST_IJLi2ELi1ELi128ELi1EEEENST_IJLi1ELi2ELi0ELi3EEEES1Z_NST_IJLi4ELi1ELi1ELi4EEEES1Z_NST_IJLi1ELi1ELi1ELi4EEEES1X_S1Y_S1Z_S1Z_S20_S1Z_S21_NST_IJLi0ELi1ELi2ELi3ELi4ELi5EEEELi5ELi4EEEaNS5_IJPKaEEEaS8_S8_S9_NSB_INS5_IJSE_SG_SI_SI_SG_SG_SK_SK_SG_SN_SN_SP_SP_SR_SG_SG_NSQ_INS5_IJiNS_17integral_constantIiLi128EEEEEELb0EEENSF_INS27_IiLi4EEEEEEEENS5_IJSU_SV_SW_SX_SY_SZ_S10_S11_S12_S13_S14_S15_S16_S17_S18_NST_IJLi19EEEES1G_NST_IJLi20EEEEEEENS5_IJS1A_SZ_S10_S11_S12_S1B_S1C_S1D_S1E_S15_S16_S18_S17_S1F_S1G_NST_IJLi22EEEENST_IJLi23ELi24EEEENST_IJLi25EEEEEEENST_IJLi22ELi23ELi24ELi25EEEElEENSB_INS5_IJSR_SP_SP_SR_SG_SG_S2A_S2C_EEENS5_IJSU_SV_SW_SY_SX_SZ_S11_S10_EEENS5_IJS1M_SX_SY_S1N_S11_S12_NST_IJLi9ELi10EEEENST_IJLi11EEEEEEENST_IJLi8ELi9ELi10ELi11EEEElEENS5_IJNSB_INS5_IJSK_SP_SP_NSQ_INS5_IJiNS27_IiLi2EEENS27_IiLi64EEEEEELb0EEES2X_EEENS5_IJSU_SV_SW_SX_SY_EEENS5_IJS1M_SX_SY_NST_IJLi5ELi6ELi7EEEENST_IJLi8ELi9ELi10EEEEEEENST_IJLi5ELi6ELi7ELi8ELi9ELi10EEEElEEEEES34_NS_31BlockToCTileMap_M00_N00_M01_N01ILi128ELi128ES1V_Lb0EEENS1_30ComputePtrOffsetOfStridedBatchILi1ELi1ELi1EvEELb1ELb1EEEvPKT0_S3C_T1_PT2_T3_T4_T5_iT6_T7_T8_T9_T10_T11_.has_recursion, 0
	.set _ZN2ck16tensor_operation6device12_GLOBAL__N_137kernel_grouped_conv_fwd_dl_multiple_dINS_32GridwiseGemmDlMultipleD_km_kn_mnILi256EaiNS_5TupleIJaEEEaNS0_12element_wise11PassThroughES8_NS7_7AddReluELNS_25InMemoryDataOperationEnumE0ENS_16TensorDescriptorINS5_IJNS_5EmbedINS5_IJiiiiEEESD_Lb0EEENS_11PassThroughIiEENS_3PadIiiiLb0EEESI_SG_SG_NSC_INS5_IJiiEEESJ_Lb0EEESK_SG_NS_23Merge_v2_magic_divisionINS5_IJiiiEEEEESN_NS_8RightPadIiiLb0EEESP_NS_7UnMergeISJ_Lb0EEESG_EEENS5_IJNS_8SequenceIJLi0EEEENST_IJLi1EEEENST_IJLi2EEEENST_IJLi3EEEENST_IJLi4EEEENST_IJLi5EEEENST_IJLi6EEEENST_IJLi7EEEENST_IJLi8EEEENST_IJLi9ELi11ELi13EEEENST_IJLi10ELi12ELi14EEEENST_IJLi15EEEENST_IJLi16EEEENST_IJLi18EEEENST_IJLi17EEEEEEENS5_IJNST_IJLi1ELi2ELi3ELi4EEEESZ_S10_S11_S12_NST_IJLi9EEEENST_IJLi10ELi11EEEENST_IJLi12ELi13EEEENST_IJLi14EEEES15_S16_S18_S17_NST_IJLi19ELi20EEEENST_IJLi21EEEEEEENST_IJLi19ELi21ELi20EEEElEENSB_INS5_IJSR_SP_SP_SR_SG_EEENS5_IJSU_SV_SW_SY_SX_EEENS5_IJNST_IJLi1ELi2EEEESX_SY_NST_IJLi5ELi6EEEES11_EEENST_IJLi5ELi7ELi6EEEElEENSB_INS5_IJSK_SP_SP_EEENS5_IJSU_SV_SW_EEENS5_IJS1M_SX_SY_EEENST_IJLi3ELi4EEEElEELi128ELi128ELi16ELi4ELi4ELi4ELi1ENST_IJLi8ELi2EEEES1W_NST_IJLi8ELi1ELi1ELi4EEEENST_IJLi2ELi1ELi128ELi1EEEENST_IJLi1ELi2ELi0ELi3EEEES1Z_NST_IJLi4ELi1ELi1ELi4EEEES1Z_NST_IJLi1ELi1ELi1ELi4EEEES1X_S1Y_S1Z_S1Z_S20_S1Z_S21_NST_IJLi0ELi1ELi2ELi3ELi4ELi5EEEELi5ELi4EEEaNS5_IJPKaEEEaS8_S8_S9_NSB_INS5_IJSE_SG_SI_SI_SG_SG_SK_SK_SG_SN_SN_SP_SP_SR_SG_SG_NSQ_INS5_IJiNS_17integral_constantIiLi128EEEEEELb0EEENSF_INS27_IiLi4EEEEEEEENS5_IJSU_SV_SW_SX_SY_SZ_S10_S11_S12_S13_S14_S15_S16_S17_S18_NST_IJLi19EEEES1G_NST_IJLi20EEEEEEENS5_IJS1A_SZ_S10_S11_S12_S1B_S1C_S1D_S1E_S15_S16_S18_S17_S1F_S1G_NST_IJLi22EEEENST_IJLi23ELi24EEEENST_IJLi25EEEEEEENST_IJLi22ELi23ELi24ELi25EEEElEENSB_INS5_IJSR_SP_SP_SR_SG_SG_S2A_S2C_EEENS5_IJSU_SV_SW_SY_SX_SZ_S11_S10_EEENS5_IJS1M_SX_SY_S1N_S11_S12_NST_IJLi9ELi10EEEENST_IJLi11EEEEEEENST_IJLi8ELi9ELi10ELi11EEEElEENS5_IJNSB_INS5_IJSK_SP_SP_NSQ_INS5_IJiNS27_IiLi2EEENS27_IiLi64EEEEEELb0EEES2X_EEENS5_IJSU_SV_SW_SX_SY_EEENS5_IJS1M_SX_SY_NST_IJLi5ELi6ELi7EEEENST_IJLi8ELi9ELi10EEEEEEENST_IJLi5ELi6ELi7ELi8ELi9ELi10EEEElEEEEES34_NS_31BlockToCTileMap_M00_N00_M01_N01ILi128ELi128ES1V_Lb0EEENS1_30ComputePtrOffsetOfStridedBatchILi1ELi1ELi1EvEELb1ELb1EEEvPKT0_S3C_T1_PT2_T3_T4_T5_iT6_T7_T8_T9_T10_T11_.has_indirect_call, 0
	.section	.AMDGPU.csdata,"",@progbits
; Kernel info:
; codeLenInByte = 43728
; TotalNumSgprs: 78
; NumVgprs: 200
; ScratchSize: 0
; MemoryBound: 0
; FloatMode: 240
; IeeeMode: 1
; LDSByteSize: 32768 bytes/workgroup (compile time only)
; SGPRBlocks: 0
; VGPRBlocks: 24
; NumSGPRsForWavesPerEU: 78
; NumVGPRsForWavesPerEU: 200
; Occupancy: 7
; WaveLimiterHint : 0
; COMPUTE_PGM_RSRC2:SCRATCH_EN: 0
; COMPUTE_PGM_RSRC2:USER_SGPR: 2
; COMPUTE_PGM_RSRC2:TRAP_HANDLER: 0
; COMPUTE_PGM_RSRC2:TGID_X_EN: 1
; COMPUTE_PGM_RSRC2:TGID_Y_EN: 0
; COMPUTE_PGM_RSRC2:TGID_Z_EN: 0
; COMPUTE_PGM_RSRC2:TIDIG_COMP_CNT: 0
	.section	.text._ZN2ck16tensor_operation6device12_GLOBAL__N_137kernel_grouped_conv_fwd_dl_multiple_dINS_32GridwiseGemmDlMultipleD_km_kn_mnILi256EaiNS_5TupleIJaEEEaNS0_12element_wise11PassThroughES8_NS7_7AddReluELNS_25InMemoryDataOperationEnumE0ENS_16TensorDescriptorINS5_IJNS_5EmbedINS5_IJiiiiEEESD_Lb0EEENS_11PassThroughIiEENS_3PadIiiiLb0EEESI_SG_SG_NSC_INS5_IJiiEEESJ_Lb0EEESK_SG_NS_23Merge_v2_magic_divisionINS5_IJiiiEEEEESN_NS_8RightPadIiiLb0EEESP_NS_7UnMergeISJ_Lb0EEESG_EEENS5_IJNS_8SequenceIJLi0EEEENST_IJLi1EEEENST_IJLi2EEEENST_IJLi3EEEENST_IJLi4EEEENST_IJLi5EEEENST_IJLi6EEEENST_IJLi7EEEENST_IJLi8EEEENST_IJLi9ELi11ELi13EEEENST_IJLi10ELi12ELi14EEEENST_IJLi15EEEENST_IJLi16EEEENST_IJLi18EEEENST_IJLi17EEEEEEENS5_IJNST_IJLi1ELi2ELi3ELi4EEEESZ_S10_S11_S12_NST_IJLi9EEEENST_IJLi10ELi11EEEENST_IJLi12ELi13EEEENST_IJLi14EEEES15_S16_S18_S17_NST_IJLi19ELi20EEEENST_IJLi21EEEEEEENST_IJLi19ELi21ELi20EEEElEENSB_INS5_IJSR_SP_SP_SR_SG_EEENS5_IJSU_SV_SW_SY_SX_EEENS5_IJNST_IJLi1ELi2EEEESX_SY_NST_IJLi5ELi6EEEES11_EEENST_IJLi5ELi7ELi6EEEElEENSB_INS5_IJSK_SP_SP_EEENS5_IJSU_SV_SW_EEENS5_IJS1M_SX_SY_EEENST_IJLi3ELi4EEEElEELi128ELi128ELi16ELi4ELi4ELi4ELi1ENST_IJLi8ELi2EEEES1W_NST_IJLi8ELi1ELi1ELi4EEEENST_IJLi2ELi1ELi128ELi1EEEENST_IJLi1ELi2ELi0ELi3EEEES1Z_NST_IJLi4ELi1ELi1ELi4EEEES1Z_NST_IJLi1ELi1ELi1ELi4EEEES1X_S1Y_S1Z_S1Z_S20_S1Z_S21_NST_IJLi0ELi1ELi2ELi3ELi4ELi5EEEELi5ELi4EEEaNS5_IJPKaEEEaS8_S8_S9_NSB_INS5_IJSE_SG_SI_SI_SG_SG_SK_SK_SG_SN_SN_SP_SP_SR_SG_SG_NSQ_INS5_IJiNS_17integral_constantIiLi128EEEEEELb0EEENSF_INS27_IiLi4EEEEEEEENS5_IJSU_SV_SW_SX_SY_SZ_S10_S11_S12_S13_S14_S15_S16_S17_S18_NST_IJLi19EEEES1G_NST_IJLi20EEEEEEENS5_IJS1A_SZ_S10_S11_S12_S1B_S1C_S1D_S1E_S15_S16_S18_S17_S1F_S1G_NST_IJLi22EEEENST_IJLi23ELi24EEEENST_IJLi25EEEEEEENST_IJLi22ELi23ELi24ELi25EEEElEENSB_INS5_IJSR_SP_SP_SR_SG_SG_S2A_S2C_EEENS5_IJSU_SV_SW_SY_SX_SZ_S11_S10_EEENS5_IJS1M_SX_SY_S1N_S11_S12_NST_IJLi9ELi10EEEENST_IJLi11EEEEEEENST_IJLi8ELi9ELi10ELi11EEEElEENS5_IJNSB_INS5_IJSK_SP_SP_NSQ_INS5_IJiNS27_IiLi2EEENS27_IiLi64EEEEEELb0EEES2X_EEENS5_IJSU_SV_SW_SX_SY_EEENS5_IJS1M_SX_SY_NST_IJLi5ELi6ELi7EEEENST_IJLi8ELi9ELi10EEEEEEENST_IJLi5ELi6ELi7ELi8ELi9ELi10EEEElEEEEES34_NS_31BlockToCTileMap_M00_N00_M01_N01ILi128ELi128ES1V_Lb0EEENS1_30ComputePtrOffsetOfStridedBatchILi1ELi1ELi1EvEELb1ELb0EEEvPKT0_S3C_T1_PT2_T3_T4_T5_iT6_T7_T8_T9_T10_T11_,"axG",@progbits,_ZN2ck16tensor_operation6device12_GLOBAL__N_137kernel_grouped_conv_fwd_dl_multiple_dINS_32GridwiseGemmDlMultipleD_km_kn_mnILi256EaiNS_5TupleIJaEEEaNS0_12element_wise11PassThroughES8_NS7_7AddReluELNS_25InMemoryDataOperationEnumE0ENS_16TensorDescriptorINS5_IJNS_5EmbedINS5_IJiiiiEEESD_Lb0EEENS_11PassThroughIiEENS_3PadIiiiLb0EEESI_SG_SG_NSC_INS5_IJiiEEESJ_Lb0EEESK_SG_NS_23Merge_v2_magic_divisionINS5_IJiiiEEEEESN_NS_8RightPadIiiLb0EEESP_NS_7UnMergeISJ_Lb0EEESG_EEENS5_IJNS_8SequenceIJLi0EEEENST_IJLi1EEEENST_IJLi2EEEENST_IJLi3EEEENST_IJLi4EEEENST_IJLi5EEEENST_IJLi6EEEENST_IJLi7EEEENST_IJLi8EEEENST_IJLi9ELi11ELi13EEEENST_IJLi10ELi12ELi14EEEENST_IJLi15EEEENST_IJLi16EEEENST_IJLi18EEEENST_IJLi17EEEEEEENS5_IJNST_IJLi1ELi2ELi3ELi4EEEESZ_S10_S11_S12_NST_IJLi9EEEENST_IJLi10ELi11EEEENST_IJLi12ELi13EEEENST_IJLi14EEEES15_S16_S18_S17_NST_IJLi19ELi20EEEENST_IJLi21EEEEEEENST_IJLi19ELi21ELi20EEEElEENSB_INS5_IJSR_SP_SP_SR_SG_EEENS5_IJSU_SV_SW_SY_SX_EEENS5_IJNST_IJLi1ELi2EEEESX_SY_NST_IJLi5ELi6EEEES11_EEENST_IJLi5ELi7ELi6EEEElEENSB_INS5_IJSK_SP_SP_EEENS5_IJSU_SV_SW_EEENS5_IJS1M_SX_SY_EEENST_IJLi3ELi4EEEElEELi128ELi128ELi16ELi4ELi4ELi4ELi1ENST_IJLi8ELi2EEEES1W_NST_IJLi8ELi1ELi1ELi4EEEENST_IJLi2ELi1ELi128ELi1EEEENST_IJLi1ELi2ELi0ELi3EEEES1Z_NST_IJLi4ELi1ELi1ELi4EEEES1Z_NST_IJLi1ELi1ELi1ELi4EEEES1X_S1Y_S1Z_S1Z_S20_S1Z_S21_NST_IJLi0ELi1ELi2ELi3ELi4ELi5EEEELi5ELi4EEEaNS5_IJPKaEEEaS8_S8_S9_NSB_INS5_IJSE_SG_SI_SI_SG_SG_SK_SK_SG_SN_SN_SP_SP_SR_SG_SG_NSQ_INS5_IJiNS_17integral_constantIiLi128EEEEEELb0EEENSF_INS27_IiLi4EEEEEEEENS5_IJSU_SV_SW_SX_SY_SZ_S10_S11_S12_S13_S14_S15_S16_S17_S18_NST_IJLi19EEEES1G_NST_IJLi20EEEEEEENS5_IJS1A_SZ_S10_S11_S12_S1B_S1C_S1D_S1E_S15_S16_S18_S17_S1F_S1G_NST_IJLi22EEEENST_IJLi23ELi24EEEENST_IJLi25EEEEEEENST_IJLi22ELi23ELi24ELi25EEEElEENSB_INS5_IJSR_SP_SP_SR_SG_SG_S2A_S2C_EEENS5_IJSU_SV_SW_SY_SX_SZ_S11_S10_EEENS5_IJS1M_SX_SY_S1N_S11_S12_NST_IJLi9ELi10EEEENST_IJLi11EEEEEEENST_IJLi8ELi9ELi10ELi11EEEElEENS5_IJNSB_INS5_IJSK_SP_SP_NSQ_INS5_IJiNS27_IiLi2EEENS27_IiLi64EEEEEELb0EEES2X_EEENS5_IJSU_SV_SW_SX_SY_EEENS5_IJS1M_SX_SY_NST_IJLi5ELi6ELi7EEEENST_IJLi8ELi9ELi10EEEEEEENST_IJLi5ELi6ELi7ELi8ELi9ELi10EEEElEEEEES34_NS_31BlockToCTileMap_M00_N00_M01_N01ILi128ELi128ES1V_Lb0EEENS1_30ComputePtrOffsetOfStridedBatchILi1ELi1ELi1EvEELb1ELb0EEEvPKT0_S3C_T1_PT2_T3_T4_T5_iT6_T7_T8_T9_T10_T11_,comdat
	.globl	_ZN2ck16tensor_operation6device12_GLOBAL__N_137kernel_grouped_conv_fwd_dl_multiple_dINS_32GridwiseGemmDlMultipleD_km_kn_mnILi256EaiNS_5TupleIJaEEEaNS0_12element_wise11PassThroughES8_NS7_7AddReluELNS_25InMemoryDataOperationEnumE0ENS_16TensorDescriptorINS5_IJNS_5EmbedINS5_IJiiiiEEESD_Lb0EEENS_11PassThroughIiEENS_3PadIiiiLb0EEESI_SG_SG_NSC_INS5_IJiiEEESJ_Lb0EEESK_SG_NS_23Merge_v2_magic_divisionINS5_IJiiiEEEEESN_NS_8RightPadIiiLb0EEESP_NS_7UnMergeISJ_Lb0EEESG_EEENS5_IJNS_8SequenceIJLi0EEEENST_IJLi1EEEENST_IJLi2EEEENST_IJLi3EEEENST_IJLi4EEEENST_IJLi5EEEENST_IJLi6EEEENST_IJLi7EEEENST_IJLi8EEEENST_IJLi9ELi11ELi13EEEENST_IJLi10ELi12ELi14EEEENST_IJLi15EEEENST_IJLi16EEEENST_IJLi18EEEENST_IJLi17EEEEEEENS5_IJNST_IJLi1ELi2ELi3ELi4EEEESZ_S10_S11_S12_NST_IJLi9EEEENST_IJLi10ELi11EEEENST_IJLi12ELi13EEEENST_IJLi14EEEES15_S16_S18_S17_NST_IJLi19ELi20EEEENST_IJLi21EEEEEEENST_IJLi19ELi21ELi20EEEElEENSB_INS5_IJSR_SP_SP_SR_SG_EEENS5_IJSU_SV_SW_SY_SX_EEENS5_IJNST_IJLi1ELi2EEEESX_SY_NST_IJLi5ELi6EEEES11_EEENST_IJLi5ELi7ELi6EEEElEENSB_INS5_IJSK_SP_SP_EEENS5_IJSU_SV_SW_EEENS5_IJS1M_SX_SY_EEENST_IJLi3ELi4EEEElEELi128ELi128ELi16ELi4ELi4ELi4ELi1ENST_IJLi8ELi2EEEES1W_NST_IJLi8ELi1ELi1ELi4EEEENST_IJLi2ELi1ELi128ELi1EEEENST_IJLi1ELi2ELi0ELi3EEEES1Z_NST_IJLi4ELi1ELi1ELi4EEEES1Z_NST_IJLi1ELi1ELi1ELi4EEEES1X_S1Y_S1Z_S1Z_S20_S1Z_S21_NST_IJLi0ELi1ELi2ELi3ELi4ELi5EEEELi5ELi4EEEaNS5_IJPKaEEEaS8_S8_S9_NSB_INS5_IJSE_SG_SI_SI_SG_SG_SK_SK_SG_SN_SN_SP_SP_SR_SG_SG_NSQ_INS5_IJiNS_17integral_constantIiLi128EEEEEELb0EEENSF_INS27_IiLi4EEEEEEEENS5_IJSU_SV_SW_SX_SY_SZ_S10_S11_S12_S13_S14_S15_S16_S17_S18_NST_IJLi19EEEES1G_NST_IJLi20EEEEEEENS5_IJS1A_SZ_S10_S11_S12_S1B_S1C_S1D_S1E_S15_S16_S18_S17_S1F_S1G_NST_IJLi22EEEENST_IJLi23ELi24EEEENST_IJLi25EEEEEEENST_IJLi22ELi23ELi24ELi25EEEElEENSB_INS5_IJSR_SP_SP_SR_SG_SG_S2A_S2C_EEENS5_IJSU_SV_SW_SY_SX_SZ_S11_S10_EEENS5_IJS1M_SX_SY_S1N_S11_S12_NST_IJLi9ELi10EEEENST_IJLi11EEEEEEENST_IJLi8ELi9ELi10ELi11EEEElEENS5_IJNSB_INS5_IJSK_SP_SP_NSQ_INS5_IJiNS27_IiLi2EEENS27_IiLi64EEEEEELb0EEES2X_EEENS5_IJSU_SV_SW_SX_SY_EEENS5_IJS1M_SX_SY_NST_IJLi5ELi6ELi7EEEENST_IJLi8ELi9ELi10EEEEEEENST_IJLi5ELi6ELi7ELi8ELi9ELi10EEEElEEEEES34_NS_31BlockToCTileMap_M00_N00_M01_N01ILi128ELi128ES1V_Lb0EEENS1_30ComputePtrOffsetOfStridedBatchILi1ELi1ELi1EvEELb1ELb0EEEvPKT0_S3C_T1_PT2_T3_T4_T5_iT6_T7_T8_T9_T10_T11_ ; -- Begin function _ZN2ck16tensor_operation6device12_GLOBAL__N_137kernel_grouped_conv_fwd_dl_multiple_dINS_32GridwiseGemmDlMultipleD_km_kn_mnILi256EaiNS_5TupleIJaEEEaNS0_12element_wise11PassThroughES8_NS7_7AddReluELNS_25InMemoryDataOperationEnumE0ENS_16TensorDescriptorINS5_IJNS_5EmbedINS5_IJiiiiEEESD_Lb0EEENS_11PassThroughIiEENS_3PadIiiiLb0EEESI_SG_SG_NSC_INS5_IJiiEEESJ_Lb0EEESK_SG_NS_23Merge_v2_magic_divisionINS5_IJiiiEEEEESN_NS_8RightPadIiiLb0EEESP_NS_7UnMergeISJ_Lb0EEESG_EEENS5_IJNS_8SequenceIJLi0EEEENST_IJLi1EEEENST_IJLi2EEEENST_IJLi3EEEENST_IJLi4EEEENST_IJLi5EEEENST_IJLi6EEEENST_IJLi7EEEENST_IJLi8EEEENST_IJLi9ELi11ELi13EEEENST_IJLi10ELi12ELi14EEEENST_IJLi15EEEENST_IJLi16EEEENST_IJLi18EEEENST_IJLi17EEEEEEENS5_IJNST_IJLi1ELi2ELi3ELi4EEEESZ_S10_S11_S12_NST_IJLi9EEEENST_IJLi10ELi11EEEENST_IJLi12ELi13EEEENST_IJLi14EEEES15_S16_S18_S17_NST_IJLi19ELi20EEEENST_IJLi21EEEEEEENST_IJLi19ELi21ELi20EEEElEENSB_INS5_IJSR_SP_SP_SR_SG_EEENS5_IJSU_SV_SW_SY_SX_EEENS5_IJNST_IJLi1ELi2EEEESX_SY_NST_IJLi5ELi6EEEES11_EEENST_IJLi5ELi7ELi6EEEElEENSB_INS5_IJSK_SP_SP_EEENS5_IJSU_SV_SW_EEENS5_IJS1M_SX_SY_EEENST_IJLi3ELi4EEEElEELi128ELi128ELi16ELi4ELi4ELi4ELi1ENST_IJLi8ELi2EEEES1W_NST_IJLi8ELi1ELi1ELi4EEEENST_IJLi2ELi1ELi128ELi1EEEENST_IJLi1ELi2ELi0ELi3EEEES1Z_NST_IJLi4ELi1ELi1ELi4EEEES1Z_NST_IJLi1ELi1ELi1ELi4EEEES1X_S1Y_S1Z_S1Z_S20_S1Z_S21_NST_IJLi0ELi1ELi2ELi3ELi4ELi5EEEELi5ELi4EEEaNS5_IJPKaEEEaS8_S8_S9_NSB_INS5_IJSE_SG_SI_SI_SG_SG_SK_SK_SG_SN_SN_SP_SP_SR_SG_SG_NSQ_INS5_IJiNS_17integral_constantIiLi128EEEEEELb0EEENSF_INS27_IiLi4EEEEEEEENS5_IJSU_SV_SW_SX_SY_SZ_S10_S11_S12_S13_S14_S15_S16_S17_S18_NST_IJLi19EEEES1G_NST_IJLi20EEEEEEENS5_IJS1A_SZ_S10_S11_S12_S1B_S1C_S1D_S1E_S15_S16_S18_S17_S1F_S1G_NST_IJLi22EEEENST_IJLi23ELi24EEEENST_IJLi25EEEEEEENST_IJLi22ELi23ELi24ELi25EEEElEENSB_INS5_IJSR_SP_SP_SR_SG_SG_S2A_S2C_EEENS5_IJSU_SV_SW_SY_SX_SZ_S11_S10_EEENS5_IJS1M_SX_SY_S1N_S11_S12_NST_IJLi9ELi10EEEENST_IJLi11EEEEEEENST_IJLi8ELi9ELi10ELi11EEEElEENS5_IJNSB_INS5_IJSK_SP_SP_NSQ_INS5_IJiNS27_IiLi2EEENS27_IiLi64EEEEEELb0EEES2X_EEENS5_IJSU_SV_SW_SX_SY_EEENS5_IJS1M_SX_SY_NST_IJLi5ELi6ELi7EEEENST_IJLi8ELi9ELi10EEEEEEENST_IJLi5ELi6ELi7ELi8ELi9ELi10EEEElEEEEES34_NS_31BlockToCTileMap_M00_N00_M01_N01ILi128ELi128ES1V_Lb0EEENS1_30ComputePtrOffsetOfStridedBatchILi1ELi1ELi1EvEELb1ELb0EEEvPKT0_S3C_T1_PT2_T3_T4_T5_iT6_T7_T8_T9_T10_T11_
	.p2align	8
	.type	_ZN2ck16tensor_operation6device12_GLOBAL__N_137kernel_grouped_conv_fwd_dl_multiple_dINS_32GridwiseGemmDlMultipleD_km_kn_mnILi256EaiNS_5TupleIJaEEEaNS0_12element_wise11PassThroughES8_NS7_7AddReluELNS_25InMemoryDataOperationEnumE0ENS_16TensorDescriptorINS5_IJNS_5EmbedINS5_IJiiiiEEESD_Lb0EEENS_11PassThroughIiEENS_3PadIiiiLb0EEESI_SG_SG_NSC_INS5_IJiiEEESJ_Lb0EEESK_SG_NS_23Merge_v2_magic_divisionINS5_IJiiiEEEEESN_NS_8RightPadIiiLb0EEESP_NS_7UnMergeISJ_Lb0EEESG_EEENS5_IJNS_8SequenceIJLi0EEEENST_IJLi1EEEENST_IJLi2EEEENST_IJLi3EEEENST_IJLi4EEEENST_IJLi5EEEENST_IJLi6EEEENST_IJLi7EEEENST_IJLi8EEEENST_IJLi9ELi11ELi13EEEENST_IJLi10ELi12ELi14EEEENST_IJLi15EEEENST_IJLi16EEEENST_IJLi18EEEENST_IJLi17EEEEEEENS5_IJNST_IJLi1ELi2ELi3ELi4EEEESZ_S10_S11_S12_NST_IJLi9EEEENST_IJLi10ELi11EEEENST_IJLi12ELi13EEEENST_IJLi14EEEES15_S16_S18_S17_NST_IJLi19ELi20EEEENST_IJLi21EEEEEEENST_IJLi19ELi21ELi20EEEElEENSB_INS5_IJSR_SP_SP_SR_SG_EEENS5_IJSU_SV_SW_SY_SX_EEENS5_IJNST_IJLi1ELi2EEEESX_SY_NST_IJLi5ELi6EEEES11_EEENST_IJLi5ELi7ELi6EEEElEENSB_INS5_IJSK_SP_SP_EEENS5_IJSU_SV_SW_EEENS5_IJS1M_SX_SY_EEENST_IJLi3ELi4EEEElEELi128ELi128ELi16ELi4ELi4ELi4ELi1ENST_IJLi8ELi2EEEES1W_NST_IJLi8ELi1ELi1ELi4EEEENST_IJLi2ELi1ELi128ELi1EEEENST_IJLi1ELi2ELi0ELi3EEEES1Z_NST_IJLi4ELi1ELi1ELi4EEEES1Z_NST_IJLi1ELi1ELi1ELi4EEEES1X_S1Y_S1Z_S1Z_S20_S1Z_S21_NST_IJLi0ELi1ELi2ELi3ELi4ELi5EEEELi5ELi4EEEaNS5_IJPKaEEEaS8_S8_S9_NSB_INS5_IJSE_SG_SI_SI_SG_SG_SK_SK_SG_SN_SN_SP_SP_SR_SG_SG_NSQ_INS5_IJiNS_17integral_constantIiLi128EEEEEELb0EEENSF_INS27_IiLi4EEEEEEEENS5_IJSU_SV_SW_SX_SY_SZ_S10_S11_S12_S13_S14_S15_S16_S17_S18_NST_IJLi19EEEES1G_NST_IJLi20EEEEEEENS5_IJS1A_SZ_S10_S11_S12_S1B_S1C_S1D_S1E_S15_S16_S18_S17_S1F_S1G_NST_IJLi22EEEENST_IJLi23ELi24EEEENST_IJLi25EEEEEEENST_IJLi22ELi23ELi24ELi25EEEElEENSB_INS5_IJSR_SP_SP_SR_SG_SG_S2A_S2C_EEENS5_IJSU_SV_SW_SY_SX_SZ_S11_S10_EEENS5_IJS1M_SX_SY_S1N_S11_S12_NST_IJLi9ELi10EEEENST_IJLi11EEEEEEENST_IJLi8ELi9ELi10ELi11EEEElEENS5_IJNSB_INS5_IJSK_SP_SP_NSQ_INS5_IJiNS27_IiLi2EEENS27_IiLi64EEEEEELb0EEES2X_EEENS5_IJSU_SV_SW_SX_SY_EEENS5_IJS1M_SX_SY_NST_IJLi5ELi6ELi7EEEENST_IJLi8ELi9ELi10EEEEEEENST_IJLi5ELi6ELi7ELi8ELi9ELi10EEEElEEEEES34_NS_31BlockToCTileMap_M00_N00_M01_N01ILi128ELi128ES1V_Lb0EEENS1_30ComputePtrOffsetOfStridedBatchILi1ELi1ELi1EvEELb1ELb0EEEvPKT0_S3C_T1_PT2_T3_T4_T5_iT6_T7_T8_T9_T10_T11_,@function
_ZN2ck16tensor_operation6device12_GLOBAL__N_137kernel_grouped_conv_fwd_dl_multiple_dINS_32GridwiseGemmDlMultipleD_km_kn_mnILi256EaiNS_5TupleIJaEEEaNS0_12element_wise11PassThroughES8_NS7_7AddReluELNS_25InMemoryDataOperationEnumE0ENS_16TensorDescriptorINS5_IJNS_5EmbedINS5_IJiiiiEEESD_Lb0EEENS_11PassThroughIiEENS_3PadIiiiLb0EEESI_SG_SG_NSC_INS5_IJiiEEESJ_Lb0EEESK_SG_NS_23Merge_v2_magic_divisionINS5_IJiiiEEEEESN_NS_8RightPadIiiLb0EEESP_NS_7UnMergeISJ_Lb0EEESG_EEENS5_IJNS_8SequenceIJLi0EEEENST_IJLi1EEEENST_IJLi2EEEENST_IJLi3EEEENST_IJLi4EEEENST_IJLi5EEEENST_IJLi6EEEENST_IJLi7EEEENST_IJLi8EEEENST_IJLi9ELi11ELi13EEEENST_IJLi10ELi12ELi14EEEENST_IJLi15EEEENST_IJLi16EEEENST_IJLi18EEEENST_IJLi17EEEEEEENS5_IJNST_IJLi1ELi2ELi3ELi4EEEESZ_S10_S11_S12_NST_IJLi9EEEENST_IJLi10ELi11EEEENST_IJLi12ELi13EEEENST_IJLi14EEEES15_S16_S18_S17_NST_IJLi19ELi20EEEENST_IJLi21EEEEEEENST_IJLi19ELi21ELi20EEEElEENSB_INS5_IJSR_SP_SP_SR_SG_EEENS5_IJSU_SV_SW_SY_SX_EEENS5_IJNST_IJLi1ELi2EEEESX_SY_NST_IJLi5ELi6EEEES11_EEENST_IJLi5ELi7ELi6EEEElEENSB_INS5_IJSK_SP_SP_EEENS5_IJSU_SV_SW_EEENS5_IJS1M_SX_SY_EEENST_IJLi3ELi4EEEElEELi128ELi128ELi16ELi4ELi4ELi4ELi1ENST_IJLi8ELi2EEEES1W_NST_IJLi8ELi1ELi1ELi4EEEENST_IJLi2ELi1ELi128ELi1EEEENST_IJLi1ELi2ELi0ELi3EEEES1Z_NST_IJLi4ELi1ELi1ELi4EEEES1Z_NST_IJLi1ELi1ELi1ELi4EEEES1X_S1Y_S1Z_S1Z_S20_S1Z_S21_NST_IJLi0ELi1ELi2ELi3ELi4ELi5EEEELi5ELi4EEEaNS5_IJPKaEEEaS8_S8_S9_NSB_INS5_IJSE_SG_SI_SI_SG_SG_SK_SK_SG_SN_SN_SP_SP_SR_SG_SG_NSQ_INS5_IJiNS_17integral_constantIiLi128EEEEEELb0EEENSF_INS27_IiLi4EEEEEEEENS5_IJSU_SV_SW_SX_SY_SZ_S10_S11_S12_S13_S14_S15_S16_S17_S18_NST_IJLi19EEEES1G_NST_IJLi20EEEEEEENS5_IJS1A_SZ_S10_S11_S12_S1B_S1C_S1D_S1E_S15_S16_S18_S17_S1F_S1G_NST_IJLi22EEEENST_IJLi23ELi24EEEENST_IJLi25EEEEEEENST_IJLi22ELi23ELi24ELi25EEEElEENSB_INS5_IJSR_SP_SP_SR_SG_SG_S2A_S2C_EEENS5_IJSU_SV_SW_SY_SX_SZ_S11_S10_EEENS5_IJS1M_SX_SY_S1N_S11_S12_NST_IJLi9ELi10EEEENST_IJLi11EEEEEEENST_IJLi8ELi9ELi10ELi11EEEElEENS5_IJNSB_INS5_IJSK_SP_SP_NSQ_INS5_IJiNS27_IiLi2EEENS27_IiLi64EEEEEELb0EEES2X_EEENS5_IJSU_SV_SW_SX_SY_EEENS5_IJS1M_SX_SY_NST_IJLi5ELi6ELi7EEEENST_IJLi8ELi9ELi10EEEEEEENST_IJLi5ELi6ELi7ELi8ELi9ELi10EEEElEEEEES34_NS_31BlockToCTileMap_M00_N00_M01_N01ILi128ELi128ES1V_Lb0EEENS1_30ComputePtrOffsetOfStridedBatchILi1ELi1ELi1EvEELb1ELb0EEEvPKT0_S3C_T1_PT2_T3_T4_T5_iT6_T7_T8_T9_T10_T11_: ; @_ZN2ck16tensor_operation6device12_GLOBAL__N_137kernel_grouped_conv_fwd_dl_multiple_dINS_32GridwiseGemmDlMultipleD_km_kn_mnILi256EaiNS_5TupleIJaEEEaNS0_12element_wise11PassThroughES8_NS7_7AddReluELNS_25InMemoryDataOperationEnumE0ENS_16TensorDescriptorINS5_IJNS_5EmbedINS5_IJiiiiEEESD_Lb0EEENS_11PassThroughIiEENS_3PadIiiiLb0EEESI_SG_SG_NSC_INS5_IJiiEEESJ_Lb0EEESK_SG_NS_23Merge_v2_magic_divisionINS5_IJiiiEEEEESN_NS_8RightPadIiiLb0EEESP_NS_7UnMergeISJ_Lb0EEESG_EEENS5_IJNS_8SequenceIJLi0EEEENST_IJLi1EEEENST_IJLi2EEEENST_IJLi3EEEENST_IJLi4EEEENST_IJLi5EEEENST_IJLi6EEEENST_IJLi7EEEENST_IJLi8EEEENST_IJLi9ELi11ELi13EEEENST_IJLi10ELi12ELi14EEEENST_IJLi15EEEENST_IJLi16EEEENST_IJLi18EEEENST_IJLi17EEEEEEENS5_IJNST_IJLi1ELi2ELi3ELi4EEEESZ_S10_S11_S12_NST_IJLi9EEEENST_IJLi10ELi11EEEENST_IJLi12ELi13EEEENST_IJLi14EEEES15_S16_S18_S17_NST_IJLi19ELi20EEEENST_IJLi21EEEEEEENST_IJLi19ELi21ELi20EEEElEENSB_INS5_IJSR_SP_SP_SR_SG_EEENS5_IJSU_SV_SW_SY_SX_EEENS5_IJNST_IJLi1ELi2EEEESX_SY_NST_IJLi5ELi6EEEES11_EEENST_IJLi5ELi7ELi6EEEElEENSB_INS5_IJSK_SP_SP_EEENS5_IJSU_SV_SW_EEENS5_IJS1M_SX_SY_EEENST_IJLi3ELi4EEEElEELi128ELi128ELi16ELi4ELi4ELi4ELi1ENST_IJLi8ELi2EEEES1W_NST_IJLi8ELi1ELi1ELi4EEEENST_IJLi2ELi1ELi128ELi1EEEENST_IJLi1ELi2ELi0ELi3EEEES1Z_NST_IJLi4ELi1ELi1ELi4EEEES1Z_NST_IJLi1ELi1ELi1ELi4EEEES1X_S1Y_S1Z_S1Z_S20_S1Z_S21_NST_IJLi0ELi1ELi2ELi3ELi4ELi5EEEELi5ELi4EEEaNS5_IJPKaEEEaS8_S8_S9_NSB_INS5_IJSE_SG_SI_SI_SG_SG_SK_SK_SG_SN_SN_SP_SP_SR_SG_SG_NSQ_INS5_IJiNS_17integral_constantIiLi128EEEEEELb0EEENSF_INS27_IiLi4EEEEEEEENS5_IJSU_SV_SW_SX_SY_SZ_S10_S11_S12_S13_S14_S15_S16_S17_S18_NST_IJLi19EEEES1G_NST_IJLi20EEEEEEENS5_IJS1A_SZ_S10_S11_S12_S1B_S1C_S1D_S1E_S15_S16_S18_S17_S1F_S1G_NST_IJLi22EEEENST_IJLi23ELi24EEEENST_IJLi25EEEEEEENST_IJLi22ELi23ELi24ELi25EEEElEENSB_INS5_IJSR_SP_SP_SR_SG_SG_S2A_S2C_EEENS5_IJSU_SV_SW_SY_SX_SZ_S11_S10_EEENS5_IJS1M_SX_SY_S1N_S11_S12_NST_IJLi9ELi10EEEENST_IJLi11EEEEEEENST_IJLi8ELi9ELi10ELi11EEEElEENS5_IJNSB_INS5_IJSK_SP_SP_NSQ_INS5_IJiNS27_IiLi2EEENS27_IiLi64EEEEEELb0EEES2X_EEENS5_IJSU_SV_SW_SX_SY_EEENS5_IJS1M_SX_SY_NST_IJLi5ELi6ELi7EEEENST_IJLi8ELi9ELi10EEEEEEENST_IJLi5ELi6ELi7ELi8ELi9ELi10EEEElEEEEES34_NS_31BlockToCTileMap_M00_N00_M01_N01ILi128ELi128ES1V_Lb0EEENS1_30ComputePtrOffsetOfStridedBatchILi1ELi1ELi1EvEELb1ELb0EEEvPKT0_S3C_T1_PT2_T3_T4_T5_iT6_T7_T8_T9_T10_T11_
; %bb.0:
	s_clause 0x3
	s_load_b32 s2, s[0:1], 0x24
	s_load_b128 s[28:31], s[0:1], 0x38
	s_load_b128 s[16:19], s[0:1], 0x274
	;; [unrolled: 1-line block ×3, first 2 shown]
	v_lshrrev_b32_e32 v38, 1, v0
	s_mov_b32 s39, 0x31004000
	v_dual_mov_b32 v73, 0 :: v_dual_lshlrev_b32 v40, 1, v0
	v_lshrrev_b32_e32 v39, 5, v0
	v_mov_b32_e32 v29, 0
	v_dual_mov_b32 v61, 0 :: v_dual_mov_b32 v26, 0
	s_delay_alu instid0(VALU_DEP_4) | instskip(NEXT) | instid1(VALU_DEP_4)
	v_and_b32_e32 v48, 0x1f8, v40
	v_lshlrev_b32_e32 v47, 6, v39
	v_dual_mov_b32 v23, 0 :: v_dual_mov_b32 v64, 0
	v_dual_mov_b32 v63, 0 :: v_dual_mov_b32 v66, 0
	;; [unrolled: 1-line block ×3, first 2 shown]
	s_wait_kmcnt 0x0
	s_abs_i32 s3, s2
	v_dual_mov_b32 v33, 0 :: v_dual_mov_b32 v62, 0
	s_cvt_f32_u32 s4, s3
	s_sub_co_i32 s6, 0, s3
	v_dual_mov_b32 v35, 0 :: v_dual_mov_b32 v68, 0
	s_delay_alu instid0(SALU_CYCLE_1)
	v_rcp_iflag_f32_e32 v1, s4
	s_clause 0x3
	s_load_b32 s4, s[0:1], 0x2c8
	s_load_b128 s[8:11], s[0:1], 0x0
	s_load_b64 s[24:25], s[0:1], 0x18
	s_load_b64 s[54:55], s[0:1], 0xc8
	v_dual_mov_b32 v67, 0 :: v_dual_mov_b32 v70, 0
	v_dual_mov_b32 v69, 0 :: v_dual_mov_b32 v74, 0
	;; [unrolled: 1-line block ×4, first 2 shown]
	v_readfirstlane_b32 s5, v1
	v_dual_mov_b32 v85, 0 :: v_dual_mov_b32 v86, 0
	v_dual_mov_b32 v88, 0 :: v_dual_mov_b32 v77, 0
	s_mul_f32 s5, s5, 0x4f7ffffe
	v_dual_mov_b32 v78, 0 :: v_dual_mov_b32 v83, 0
	v_dual_mov_b32 v80, 0 :: v_dual_mov_b32 v93, 0
	s_wait_alu 0xfffe
	s_cvt_u32_f32 s5, s5
	s_wait_kmcnt 0x0
	s_abs_i32 s7, s4
	s_xor_b32 s2, s4, s2
	v_dual_mov_b32 v92, 0 :: v_dual_mov_b32 v87, 0
	s_wait_alu 0xfffe
	s_mul_i32 s6, s6, s5
	s_ashr_i32 s2, s2, 31
	s_mul_hi_u32 s6, s5, s6
	v_dual_mov_b32 v94, 0 :: v_dual_mov_b32 v89, 0
	s_add_co_i32 s5, s5, s6
	v_dual_mov_b32 v96, 0 :: v_dual_mov_b32 v91, 0
	s_wait_alu 0xfffe
	s_mul_hi_u32 s5, s7, s5
	v_dual_mov_b32 v90, 0 :: v_dual_mov_b32 v101, 0
	s_wait_alu 0xfffe
	s_mul_i32 s4, s5, s3
	s_add_co_i32 s6, s5, 1
	s_wait_alu 0xfffe
	s_sub_co_i32 s4, s7, s4
	v_dual_mov_b32 v100, 0 :: v_dual_mov_b32 v103, 0
	s_wait_alu 0xfffe
	s_sub_co_i32 s7, s4, s3
	s_cmp_ge_u32 s4, s3
	v_dual_mov_b32 v102, 0 :: v_dual_mov_b32 v95, 0
	s_cselect_b32 s5, s6, s5
	s_cselect_b32 s4, s7, s4
	s_wait_alu 0xfffe
	s_add_co_i32 s6, s5, 1
	s_cmp_ge_u32 s4, s3
	v_dual_mov_b32 v97, 0 :: v_dual_mov_b32 v98, 0
	s_cselect_b32 s3, s6, s5
	s_abs_i32 s20, ttmp9
	s_xor_b32 s3, s3, s2
	v_dual_mov_b32 v99, 0 :: v_dual_mov_b32 v104, 0
	s_sub_co_i32 s3, s3, s2
	v_dual_mov_b32 v105, 0 :: v_dual_mov_b32 v106, 0
	s_abs_i32 s4, s3
	s_xor_b32 s3, ttmp9, s3
	s_wait_alu 0xfffe
	s_cvt_f32_u32 s2, s4
	s_sub_co_i32 s7, 0, s4
	s_ashr_i32 s3, s3, 31
	v_dual_mov_b32 v107, 0 :: v_dual_mov_b32 v82, 0
	v_rcp_iflag_f32_e32 v1, s2
	v_dual_mov_b32 v81, 0 :: v_dual_mov_b32 v72, 0
	v_dual_mov_b32 v20, 0 :: v_dual_mov_b32 v79, 0
	v_mov_b32_e32 v30, 0
	s_mov_b32 s43, s39
	v_dual_mov_b32 v25, 0 :: v_dual_mov_b32 v34, 0
	v_mov_b32_e32 v19, 0
	s_delay_alu instid0(TRANS32_DEP_1) | instskip(SKIP_3) | instid1(VALU_DEP_2)
	v_readfirstlane_b32 s2, v1
	v_dual_mov_b32 v22, 0 :: v_dual_lshlrev_b32 v1, 3, v0
	v_dual_mov_b32 v24, 0 :: v_dual_mov_b32 v21, 0
	s_mul_f32 s2, s2, 0x4f7ffffe
	v_and_b32_e32 v37, 8, v1
	v_mov_b32_e32 v27, 0
	s_wait_alu 0xfffe
	s_cvt_u32_f32 s5, s2
	s_clause 0x7
	s_load_b32 s67, s[0:1], 0x100
	s_load_b32 s68, s[0:1], 0x10c
	;; [unrolled: 1-line block ×8, first 2 shown]
	v_or_b32_e32 v1, 4, v37
	v_or_b32_e32 v53, 20, v37
	s_mul_i32 s7, s7, s5
	v_or_b32_e32 v54, 16, v37
	s_mul_hi_u32 s7, s5, s7
	v_or_b32_e32 v51, 36, v37
	s_add_co_i32 s5, s5, s7
	v_or_b32_e32 v52, 32, v37
	s_wait_alu 0xfffe
	s_mul_hi_u32 s5, s20, s5
	s_wait_alu 0xfffe
	s_mul_i32 s7, s5, s4
	s_delay_alu instid0(SALU_CYCLE_1)
	s_sub_co_i32 s7, s20, s7
	s_add_co_i32 s20, s5, 1
	s_sub_co_i32 s21, s7, s4
	s_cmp_ge_u32 s7, s4
	s_wait_kmcnt 0x0
	v_mul_lo_u32 v55, s67, v37
	s_cselect_b32 s5, s20, s5
	s_cselect_b32 s7, s21, s7
	s_wait_alu 0xfffe
	s_add_co_i32 s20, s5, 1
	s_cmp_ge_u32 s7, s4
	s_mul_hi_u32 s4, s19, ttmp9
	s_cselect_b32 s36, s20, s5
	s_wait_alu 0xfffe
	s_add_co_i32 s4, ttmp9, s4
	s_clause 0x2
	s_load_b32 s7, s[0:1], 0x244
	s_load_b32 s40, s[0:1], 0x254
	s_load_b128 s[20:23], s[0:1], 0x260
	s_lshr_b32 s37, s4, s15
	v_mul_lo_u32 v41, s67, v1
	s_mul_hi_u32 s4, s37, s18
	s_clause 0x2
	s_load_b64 s[56:57], s[0:1], 0xd4
	s_load_b32 s70, s[0:1], 0xe4
	s_load_b32 s64, s[0:1], 0xf0
	s_add_co_i32 s4, s37, s4
	v_mul_hi_u32 v1, v55, s55
	s_wait_alu 0xfffe
	s_lshr_b32 s41, s4, s14
	v_mul_lo_u32 v59, s69, v37
	s_mul_hi_u32 s4, s41, s17
	v_mul_hi_u32 v2, v41, s55
	s_wait_alu 0xfffe
	s_add_co_i32 s4, s41, s4
	v_mul_lo_u32 v49, s69, v53
	s_wait_alu 0xfffe
	s_lshr_b32 s42, s4, s13
	s_clause 0x3
	s_load_b64 s[4:5], s[0:1], 0x94
	s_load_b64 s[26:27], s[0:1], 0xa0
	;; [unrolled: 1-line block ×4, first 2 shown]
	s_mul_hi_u32 s13, s42, s16
	v_add_nc_u32_e32 v1, v55, v1
	s_add_co_i32 s13, s42, s13
	v_add_nc_u32_e32 v2, v41, v2
	s_lshr_b32 s12, s13, s12
	s_wait_kmcnt 0x0
	s_mul_i32 s13, s41, s22
	s_mul_i32 s12, s12, s20
	s_sub_co_i32 s47, s37, s13
	s_sub_co_i32 s12, s42, s12
	v_lshrrev_b32_e32 v3, s57, v1
	s_mul_i32 s12, s12, s7
	v_lshrrev_b32_e32 v2, s57, v2
	s_add_co_i32 s47, s47, s12
	s_clause 0x1
	s_load_b32 s65, s[0:1], 0x50
	s_load_b96 s[44:46], s[0:1], 0x4c
	v_lshl_or_b32 v60, s47, 7, v38
	v_mul_hi_u32 v1, v3, s54
	v_mul_hi_u32 v4, v2, s54
	s_clause 0x4
	s_load_b32 s66, s[0:1], 0x5c
	s_load_b64 s[60:61], s[0:1], 0x74
	s_load_b64 s[62:63], s[0:1], 0x84
	s_load_b96 s[48:50], s[0:1], 0x58
	s_load_b256 s[12:19], s[0:1], 0x2a0
	v_mul_hi_u32 v5, v60, s27
	v_mul_lo_u32 v7, v2, s59
	v_mul_lo_u32 v6, v3, s59
	s_mul_i32 s42, s42, s21
	v_add_nc_u32_e32 v1, v3, v1
	v_add_nc_u32_e32 v4, v2, v4
	s_mul_i32 s37, s37, s23
	s_sub_co_i32 s20, s41, s42
	v_add_nc_u32_e32 v5, v60, v5
	v_lshrrev_b32_e32 v1, s56, v1
	v_sub_nc_u32_e32 v43, v41, v7
	v_lshrrev_b32_e32 v42, s56, v4
	v_sub_nc_u32_e32 v4, v55, v6
	v_lshrrev_b32_e32 v7, s35, v5
	v_mul_lo_u32 v6, v1, s58
	s_wait_kmcnt 0x0
	s_sub_co_i32 s49, ttmp9, s37
	v_mul_lo_u32 v8, v42, s58
	v_mul_lo_u32 v5, v4, s31
	v_mul_hi_u32 v9, v7, s26
	v_sub_nc_u32_e32 v4, v43, v4
	v_sub_nc_u32_e32 v10, v42, v1
	v_mul_lo_u32 v1, v1, s60
	v_sub_nc_u32_e32 v3, v3, v6
	s_mul_i32 s20, s20, s40
	v_mul_lo_u32 v6, v4, s31
	v_sub_nc_u32_e32 v44, v2, v8
	v_add_nc_u32_e32 v4, v7, v9
	v_mul_lo_u32 v2, v3, s62
	s_add_co_i32 s49, s49, s20
	v_mul_lo_u32 v108, v10, s60
	v_sub_nc_u32_e32 v3, v44, v3
	v_lshrrev_b32_e32 v8, s34, v4
	v_mul_lo_u32 v4, v7, s5
	v_lshl_or_b32 v109, s49, 7, v38
	s_mov_b32 s7, s39
	v_mul_lo_u32 v110, v3, s62
	v_mul_lo_u32 v9, v8, s4
	s_xor_b32 s4, s36, s3
	v_mul_lo_u32 v45, v109, s33
	s_wait_alu 0xfffe
	s_sub_co_i32 s20, s4, s3
	v_sub_nc_u32_e32 v4, v60, v4
	v_mul_lo_u32 v12, v8, s28
	s_ashr_i32 s21, s20, 31
	v_lshlrev_b32_e32 v38, 2, v38
	v_sub_nc_u32_e32 v7, v7, v9
	v_mad_co_u64_u32 v[17:18], null, v4, s63, v[2:3]
	s_mul_u64 s[4:5], s[14:15], s[20:21]
	v_add_nc_u32_e32 v11, v45, v59
	v_mad_co_u64_u32 v[31:32], null, v7, s61, v[1:2]
	s_wait_alu 0xfffe
	s_add_nc_u64 s[40:41], s[10:11], s[4:5]
	s_lshl_b32 s10, s69, 2
	v_subrev_nc_u32_e32 v7, s66, v17
	s_and_b32 s41, s41, 0xffff
	s_mov_b32 s4, s40
	s_mov_b32 s5, s41
	v_subrev_nc_u32_e32 v9, s65, v31
	v_mad_co_u64_u32 v[7:8], null, v7, s30, v[5:6]
	buffer_load_b128 v[1:4], v11, s[4:7], null offen
	s_mul_u64 s[12:13], s[12:13], s[20:21]
	v_mul_lo_u32 v5, v9, s29
	s_add_nc_u64 s[36:37], s[8:9], s[12:13]
	v_mul_lo_u32 v50, s69, v54
	s_and_b32 s37, s37, 0xffff
	v_mad_co_u64_u32 v[9:10], null, v108, s29, v[6:7]
	v_mul_lo_u32 v10, v110, s30
	v_add_nc_u32_e32 v6, s10, v11
	v_add3_u32 v11, v7, v12, v5
	v_mul_lo_u32 v53, s67, v53
	v_mul_lo_u32 v54, s67, v54
	v_lshlrev_b32_e32 v39, 3, v39
	buffer_load_b128 v[5:8], v6, s[4:7], null offen
	v_lshlrev_b32_e32 v0, 2, v0
	v_add3_u32 v36, v9, v10, v11
	s_clause 0x1
	buffer_load_b128 v[9:12], v11, s[36:39], null offen
	buffer_load_b128 v[13:16], v36, s[36:39], null offen
	v_lshl_or_b32 v46, v37, 9, v38
	v_sub_nc_u32_e32 v38, v48, v47
	s_clause 0x3
	s_load_b64 s[52:53], s[0:1], 0x198
	s_load_b32 s33, s[0:1], 0x1a4
	s_load_b32 s45, s[0:1], 0x1b0
	s_load_b64 s[26:27], s[0:1], 0x1d8
	s_mov_b32 s42, s6
	s_mul_i32 s6, s67, 12
	s_wait_kmcnt 0x0
	s_sub_co_i32 s27, s48, s50
	s_lshl_b32 s7, s67, 2
	v_mul_lo_u32 v47, s69, v51
	v_mul_lo_u32 v48, s69, v52
	v_mul_lo_u32 v51, s67, v51
	v_mul_lo_u32 v52, s67, v52
	v_cmp_gt_i32_e64 s3, s64, v55
	v_cmp_gt_i32_e64 s5, s51, v59
	v_dual_mov_b32 v57, v53 :: v_dual_mov_b32 v58, v54
	v_and_or_b32 v40, v40, 4, v39
	v_and_or_b32 v39, v0, 4, v38
	v_add_nc_u32_e32 v0, s10, v59
	s_lshl_b32 s50, s67, 5
	s_add_co_i32 s67, s7, s6
	s_wait_alu 0xfffe
	v_cmp_gt_i32_e64 s7, s27, v17
	v_add_nc_u32_e32 v59, v17, v110
	s_clause 0x3
	s_load_b64 s[34:35], s[0:1], 0x1e8
	s_load_b32 s15, s[0:1], 0x1f4
	s_load_b32 s28, s[0:1], 0x200
	s_load_b64 s[22:23], s[0:1], 0x228
	v_cmp_gt_i32_e64 s4, s64, v41
	v_cmp_gt_i32_e32 vcc_lo, s2, v109
	s_and_b32 s11, s7, s3
	v_cmp_gt_i32_e64 s3, s27, v59
	v_cmp_gt_i32_e64 s2, s70, v60
	v_cmp_le_i32_e64 s7, s66, v59
	v_add_nc_u32_e32 v60, v31, v108
	s_sub_co_i32 s44, s44, s46
	s_and_b32 s3, s3, s4
	v_cmp_le_i32_e64 s8, s66, v17
	v_cmp_le_i32_e64 s9, s65, v31
	v_cmp_gt_i32_e64 s10, s44, v31
	s_wait_alu 0xfffe
	s_and_b32 s7, s3, s7
	v_cmp_le_i32_e64 s3, s65, v60
	v_cmp_gt_i32_e64 s4, s44, v60
	v_cmp_gt_i32_e64 s6, s51, v0
	s_and_b32 s5, s5, vcc_lo
	s_and_b32 s8, s11, s8
	s_and_b32 s9, s9, s10
	s_and_b32 s3, s3, s4
	s_and_b32 s4, s8, s9
	v_mov_b32_e32 v18, 0
	v_dual_mov_b32 v32, 0 :: v_dual_lshlrev_b32 v37, 2, v40
	v_dual_mov_b32 v55, v51 :: v_dual_lshlrev_b32 v38, 2, v39
	v_mov_b32_e32 v56, v52
	s_mov_b32 s61, 0
	s_mov_b32 s63, 0
	s_wait_kmcnt 0x0
	s_mov_b32 s23, s55
	s_sub_co_i32 s46, s68, 32
	s_lshl_b32 s48, s69, 5
	s_sub_co_i32 s55, 0, s59
	s_wait_loadcnt 0x3
	s_wait_alu 0xfffe
	v_cndmask_b32_e64 v2, 0, v2, s5
	v_cndmask_b32_e64 v1, 0, v1, s5
	;; [unrolled: 1-line block ×4, first 2 shown]
	s_and_b32 s5, s7, s3
	s_and_b32 s3, s6, vcc_lo
	ds_store_2addr_stride64_b32 v46, v1, v2 offset0:64 offset1:66
	ds_store_2addr_stride64_b32 v46, v3, v0 offset0:68 offset1:70
	s_wait_loadcnt 0x2
	s_wait_alu 0xfffe
	v_cndmask_b32_e64 v0, 0, v8, s3
	v_cndmask_b32_e64 v1, 0, v7, s3
	;; [unrolled: 1-line block ×4, first 2 shown]
	s_and_b32 s3, s2, s4
	s_wait_loadcnt 0x1
	s_wait_alu 0xfffe
	v_cndmask_b32_e64 v4, 0, v12, s3
	v_cndmask_b32_e64 v5, 0, v11, s3
	;; [unrolled: 1-line block ×4, first 2 shown]
	s_and_b32 s3, s2, s5
	s_wait_loadcnt 0x0
	s_wait_alu 0xfffe
	v_cndmask_b32_e64 v9, 0, v14, s3
	v_cndmask_b32_e64 v10, 0, v13, s3
	;; [unrolled: 1-line block ×4, first 2 shown]
	ds_store_2addr_stride64_b32 v46, v3, v2 offset0:72 offset1:74
	ds_store_2addr_stride64_b32 v46, v7, v6 offset1:2
	ds_store_2addr_stride64_b32 v46, v5, v4 offset0:4 offset1:6
	ds_store_2addr_stride64_b32 v46, v10, v9 offset0:8 offset1:10
	;; [unrolled: 1-line block ×4, first 2 shown]
.LBB6_1:                                ; =>This Inner Loop Header: Depth=1
	v_mul_hi_u32 v12, s23, v58
	v_mul_hi_u32 v13, s23, v57
	v_mul_hi_u32 v14, s23, v56
	v_add_nc_u32_e32 v11, s61, v54
	v_mul_hi_u32 v15, s23, v55
	v_add_nc_u32_e32 v8, s61, v53
	v_add_nc_u32_e32 v9, s61, v52
	;; [unrolled: 1-line block ×4, first 2 shown]
	v_add3_u32 v41, s67, s67, v41
	v_add_nc_u32_e32 v13, v8, v13
	v_add_nc_u32_e32 v14, v9, v14
	;; [unrolled: 1-line block ×3, first 2 shown]
	v_lshrrev_b32_e32 v16, s57, v12
	v_cmp_gt_i32_e64 s11, s64, v8
	v_lshrrev_b32_e32 v17, s57, v13
	v_lshrrev_b32_e32 v14, s57, v14
	;; [unrolled: 1-line block ×3, first 2 shown]
	v_mul_lo_u32 v109, s55, v16
	v_mul_hi_u32 v110, v16, s54
	v_cmp_gt_i32_e64 s9, s64, v9
	v_mad_co_u64_u32 v[12:13], null, s55, v17, v[8:9]
	v_mad_co_u64_u32 v[8:9], null, s55, v14, v[9:10]
	v_cmp_gt_i32_e64 s8, s64, v10
	v_mad_co_u64_u32 v[9:10], null, s55, v15, v[10:11]
	v_mul_hi_u32 v13, v17, s54
	v_mul_hi_u32 v111, v14, s54
	v_mul_lo_u32 v112, v15, s59
	v_mul_hi_u32 v10, v15, s54
	v_add_nc_u32_e32 v113, v11, v109
	v_sub_nc_u32_e32 v109, v109, v43
	v_add_nc_u32_e32 v110, v16, v110
	v_sub_nc_u32_e32 v114, v8, v12
	v_add_nc_u32_e32 v13, v17, v13
	v_add_nc_u32_e32 v111, v14, v111
	v_sub_nc_u32_e32 v43, v41, v112
	v_add_nc_u32_e32 v112, v15, v10
	v_add_nc_u32_e32 v10, v11, v109
	v_lshrrev_b32_e32 v109, s56, v110
	v_sub_nc_u32_e32 v12, v12, v113
	v_lshrrev_b32_e32 v13, s56, v13
	v_lshrrev_b32_e32 v110, s56, v111
	v_cmp_gt_i32_e64 s10, s64, v11
	v_mul_lo_u32 v111, v109, s58
	v_sub_nc_u32_e32 v113, v109, v42
	v_mad_co_u64_u32 v[10:11], null, v10, s31, v[36:37]
	v_sub_nc_u32_e32 v9, v9, v8
	v_mul_lo_u32 v36, v13, s58
	v_mul_lo_u32 v11, v12, s31
	v_sub_nc_u32_e32 v12, v110, v13
	v_sub_nc_u32_e32 v109, v13, v109
	v_lshrrev_b32_e32 v42, s56, v112
	v_mul_lo_u32 v112, v113, s60
	v_sub_nc_u32_e32 v16, v16, v111
	v_mul_lo_u32 v8, v114, s31
	v_mul_lo_u32 v9, v9, s31
	;; [unrolled: 1-line block ×6, first 2 shown]
	v_sub_nc_u32_e32 v12, v42, v110
	v_sub_nc_u32_e32 v17, v17, v36
	;; [unrolled: 1-line block ×3, first 2 shown]
	v_cmp_gt_i32_e64 s3, s51, v50
	v_cmp_gt_i32_e64 s4, s51, v49
	v_add_nc_u32_e32 v60, v112, v60
	v_mul_lo_u32 v36, v12, s60
	v_sub_nc_u32_e32 v16, v17, v16
	v_mad_co_u64_u32 v[109:110], null, v114, s29, v[8:9]
	v_mul_lo_u32 v8, v111, s62
	s_and_b32 s7, vcc_lo, s3
	s_and_b32 s3, vcc_lo, s4
	v_sub_nc_u32_e32 v14, v14, v13
	v_sub_nc_u32_e32 v44, v15, v115
	v_cmp_le_i32_e64 s4, s65, v60
	v_cmp_gt_i32_e64 s12, s44, v60
	v_add_nc_u32_e32 v15, v113, v60
	v_mad_co_u64_u32 v[12:13], null, v113, s29, v[11:12]
	v_mul_lo_u32 v13, v16, s62
	v_mul_lo_u32 v112, v112, s29
	v_sub_nc_u32_e32 v11, v14, v17
	v_mad_co_u64_u32 v[16:17], null, v36, s29, v[9:10]
	s_and_b32 s71, s4, s12
	v_cmp_le_i32_e64 s4, s65, v15
	v_cmp_gt_i32_e64 s12, s44, v15
	v_add_nc_u32_e32 v9, v114, v15
	v_add_nc_u32_e32 v15, v8, v59
	v_mul_lo_u32 v8, v8, s30
	v_mul_lo_u32 v11, v11, s62
	v_sub_nc_u32_e32 v14, v44, v14
	v_mul_lo_u32 v59, v13, s30
	s_and_b32 s69, s4, s12
	v_cmp_le_i32_e64 s4, s65, v9
	v_cmp_gt_i32_e64 s12, s44, v9
	v_add_nc_u32_e32 v60, v36, v9
	v_cmp_gt_i32_e64 s14, s27, v15
	v_add_nc_u32_e32 v9, v13, v15
	v_add3_u32 v13, v10, v112, v8
	v_mul_lo_u32 v14, v14, s62
	v_add_nc_u32_e32 v0, v45, v50
	v_cmp_le_i32_e64 s13, s66, v15
	s_and_b32 s70, s4, s12
	v_cmp_le_i32_e64 s4, s65, v60
	v_cmp_gt_i32_e64 s12, s44, v60
	s_and_b32 s68, s14, s10
	v_cmp_gt_i32_e64 s10, s27, v9
	v_add_nc_u32_e32 v15, v11, v9
	v_add3_u32 v36, v12, v13, v59
	v_add_nc_u32_e32 v1, v45, v49
	v_mul_lo_u32 v182, v11, s30
	s_clause 0x1
	buffer_load_b128 v[4:7], v0, s[40:43], null offen
	buffer_load_b128 v[0:3], v1, s[40:43], null offen
	v_mul_lo_u32 v17, v14, s30
	v_cmp_le_i32_e64 s14, s66, v9
	s_and_b32 s13, s68, s13
	s_and_b32 s68, s4, s12
	buffer_load_b128 v[8:11], v13, s[36:39], null offen
	s_and_b32 s12, s10, s11
	v_cmp_le_i32_e64 s10, s66, v15
	v_cmp_gt_i32_e64 s11, s27, v15
	v_add_nc_u32_e32 v59, v14, v15
	buffer_load_b128 v[12:15], v36, s[36:39], null offen
	s_wait_dscnt 0x0
	s_barrier_signal -1
	s_barrier_wait -1
	ds_load_b128 v[110:113], v37
	ds_load_b128 v[114:117], v38 offset:16384
	ds_load_b128 v[118:121], v38 offset:16640
	;; [unrolled: 1-line block ×17, first 2 shown]
	v_add3_u32 v109, v109, v182, v36
	ds_load_b128 v[182:185], v37 offset:2048
	ds_load_b128 v[186:189], v37 offset:2304
	v_add_nc_u32_e32 v31, v45, v48
	s_wait_dscnt 0x12
	v_dot4_i32_iu8 v36, v110, v114, v107 neg_lo:[1,1,0]
	v_dot4_i32_iu8 v106, v110, v115, v106 neg_lo:[1,1,0]
	;; [unrolled: 1-line block ×14, first 2 shown]
	s_wait_dscnt 0x11
	v_dot4_i32_iu8 v99, v110, v118, v99 neg_lo:[1,1,0]
	v_dot4_i32_iu8 v98, v110, v119, v98 neg_lo:[1,1,0]
	;; [unrolled: 1-line block ×18, first 2 shown]
	ds_load_b128 v[74:77], v38 offset:18944
	s_wait_dscnt 0x11
	v_dot4_i32_iu8 v70, v122, v114, v70 neg_lo:[1,1,0]
	v_dot4_i32_iu8 v69, v122, v115, v69 neg_lo:[1,1,0]
	;; [unrolled: 1-line block ×16, first 2 shown]
	ds_load_b128 v[63:66], v38 offset:19200
	v_dot4_i32_iu8 v62, v122, v118, v62 neg_lo:[1,1,0]
	v_dot4_i32_iu8 v115, v122, v119, v35 neg_lo:[1,1,0]
	;; [unrolled: 1-line block ×16, first 2 shown]
	s_wait_dscnt 0xf
	v_dot4_i32_iu8 v36, v134, v126, v36 neg_lo:[1,1,0]
	v_dot4_i32_iu8 v106, v134, v127, v106 neg_lo:[1,1,0]
	;; [unrolled: 1-line block ×22, first 2 shown]
	ds_load_b128 v[18:21], v37 offset:2560
	ds_load_b128 v[22:25], v37 offset:2816
	v_dot4_i32_iu8 v85, v137, v128, v85 neg_lo:[1,1,0]
	v_dot4_i32_iu8 v84, v137, v129, v84 neg_lo:[1,1,0]
	;; [unrolled: 1-line block ×10, first 2 shown]
	ds_load_b128 v[26:29], v38 offset:19456
	s_wait_dscnt 0x11
	v_dot4_i32_iu8 v121, v138, v126, v70 neg_lo:[1,1,0]
	v_dot4_i32_iu8 v125, v138, v127, v69 neg_lo:[1,1,0]
	;; [unrolled: 1-line block ×16, first 2 shown]
	ds_load_b128 v[32:35], v38 offset:19712
	v_dot4_i32_iu8 v62, v138, v130, v62 neg_lo:[1,1,0]
	v_dot4_i32_iu8 v115, v138, v131, v115 neg_lo:[1,1,0]
	;; [unrolled: 1-line block ×16, first 2 shown]
	s_wait_dscnt 0xf
	v_dot4_i32_iu8 v36, v150, v142, v36 neg_lo:[1,1,0]
	v_dot4_i32_iu8 v106, v150, v143, v106 neg_lo:[1,1,0]
	;; [unrolled: 1-line block ×22, first 2 shown]
	ds_load_b128 v[67:70], v37 offset:3072
	ds_load_b128 v[78:81], v37 offset:3328
	v_dot4_i32_iu8 v196, v153, v144, v85 neg_lo:[1,1,0]
	v_dot4_i32_iu8 v197, v153, v145, v84 neg_lo:[1,1,0]
	;; [unrolled: 1-line block ×10, first 2 shown]
	ds_load_b128 v[82:85], v38 offset:19968
	ds_load_b128 v[86:89], v38 offset:20224
	s_wait_dscnt 0x12
	v_dot4_i32_iu8 v121, v154, v142, v121 neg_lo:[1,1,0]
	v_dot4_i32_iu8 v125, v154, v143, v125 neg_lo:[1,1,0]
	;; [unrolled: 1-line block ×32, first 2 shown]
	s_wait_dscnt 0xf
	v_dot4_i32_iu8 v36, v166, v158, v36 neg_lo:[1,1,0]
	v_dot4_i32_iu8 v106, v166, v159, v106 neg_lo:[1,1,0]
	;; [unrolled: 1-line block ×22, first 2 shown]
	ds_load_b128 v[90:93], v37 offset:3584
	ds_load_b128 v[94:97], v37 offset:3840
	v_dot4_i32_iu8 v154, v169, v160, v196 neg_lo:[1,1,0]
	v_dot4_i32_iu8 v155, v169, v161, v197 neg_lo:[1,1,0]
	;; [unrolled: 1-line block ×10, first 2 shown]
	ds_load_b128 v[98:101], v38 offset:20480
	ds_load_b128 v[102:105], v38 offset:20736
	s_wait_dscnt 0x12
	v_dot4_i32_iu8 v169, v170, v158, v121 neg_lo:[1,1,0]
	v_dot4_i32_iu8 v125, v170, v159, v125 neg_lo:[1,1,0]
	;; [unrolled: 1-line block ×32, first 2 shown]
	s_wait_dscnt 0xf
	v_dot4_i32_iu8 v36, v182, v174, v36 neg_lo:[1,1,0]
	v_dot4_i32_iu8 v106, v182, v175, v106 neg_lo:[1,1,0]
	;; [unrolled: 1-line block ×22, first 2 shown]
	ds_load_b128 v[110:113], v37 offset:4096
	ds_load_b128 v[114:117], v37 offset:4352
	v_dot4_i32_iu8 v154, v185, v176, v154 neg_lo:[1,1,0]
	v_dot4_i32_iu8 v155, v185, v177, v155 neg_lo:[1,1,0]
	;; [unrolled: 1-line block ×10, first 2 shown]
	ds_load_b128 v[118:121], v38 offset:20992
	s_wait_dscnt 0x11
	v_dot4_i32_iu8 v169, v186, v174, v169 neg_lo:[1,1,0]
	v_dot4_i32_iu8 v185, v186, v175, v125 neg_lo:[1,1,0]
	;; [unrolled: 1-line block ×16, first 2 shown]
	ds_load_b128 v[122:125], v38 offset:21248
	v_dot4_i32_iu8 v62, v186, v178, v62 neg_lo:[1,1,0]
	v_dot4_i32_iu8 v159, v186, v179, v159 neg_lo:[1,1,0]
	;; [unrolled: 1-line block ×16, first 2 shown]
	s_wait_dscnt 0xf
	v_dot4_i32_iu8 v36, v18, v74, v36 neg_lo:[1,1,0]
	v_dot4_i32_iu8 v106, v18, v75, v106 neg_lo:[1,1,0]
	v_dot4_i32_iu8 v144, v18, v76, v144 neg_lo:[1,1,0]
	v_dot4_i32_iu8 v145, v18, v77, v145 neg_lo:[1,1,0]
	v_dot4_i32_iu8 v146, v19, v74, v146 neg_lo:[1,1,0]
	v_dot4_i32_iu8 v147, v19, v75, v147 neg_lo:[1,1,0]
	v_dot4_i32_iu8 v148, v19, v76, v148 neg_lo:[1,1,0]
	v_dot4_i32_iu8 v149, v19, v77, v149 neg_lo:[1,1,0]
	v_dot4_i32_iu8 v163, v20, v74, v163 neg_lo:[1,1,0]
	v_dot4_i32_iu8 v164, v20, v75, v164 neg_lo:[1,1,0]
	v_dot4_i32_iu8 v165, v20, v76, v165 neg_lo:[1,1,0]
	v_dot4_i32_iu8 v173, v20, v77, v173 neg_lo:[1,1,0]
	v_dot4_i32_iu8 v140, v21, v74, v140 neg_lo:[1,1,0]
	v_dot4_i32_iu8 v141, v21, v75, v141 neg_lo:[1,1,0]
	v_dot4_i32_iu8 v156, v18, v63, v156 neg_lo:[1,1,0]
	v_dot4_i32_iu8 v157, v18, v64, v157 neg_lo:[1,1,0]
	v_dot4_i32_iu8 v180, v18, v65, v192 neg_lo:[1,1,0]
	v_dot4_i32_iu8 v150, v18, v66, v150 neg_lo:[1,1,0]
	v_dot4_i32_iu8 v166, v19, v63, v166 neg_lo:[1,1,0]
	v_dot4_i32_iu8 v181, v19, v64, v182 neg_lo:[1,1,0]
	v_dot4_i32_iu8 v182, v19, v65, v193 neg_lo:[1,1,0]
	v_dot4_i32_iu8 v151, v19, v66, v151 neg_lo:[1,1,0]
	ds_load_b128 v[126:129], v37 offset:4608
	ds_load_b128 v[130:133], v37 offset:4864
	v_dot4_i32_iu8 v154, v21, v76, v154 neg_lo:[1,1,0]
	v_dot4_i32_iu8 v155, v21, v77, v155 neg_lo:[1,1,0]
	;; [unrolled: 1-line block ×10, first 2 shown]
	ds_load_b128 v[18:21], v38 offset:21504
	s_wait_dscnt 0x11
	v_dot4_i32_iu8 v169, v22, v74, v169 neg_lo:[1,1,0]
	v_dot4_i32_iu8 v185, v22, v75, v185 neg_lo:[1,1,0]
	;; [unrolled: 1-line block ×16, first 2 shown]
	ds_load_b128 v[71:74], v38 offset:21760
	v_dot4_i32_iu8 v174, v22, v63, v62 neg_lo:[1,1,0]
	v_dot4_i32_iu8 v159, v22, v64, v159 neg_lo:[1,1,0]
	;; [unrolled: 1-line block ×16, first 2 shown]
	s_wait_dscnt 0xf
	v_dot4_i32_iu8 v36, v67, v26, v36 neg_lo:[1,1,0]
	v_dot4_i32_iu8 v106, v67, v27, v106 neg_lo:[1,1,0]
	;; [unrolled: 1-line block ×22, first 2 shown]
	ds_load_b128 v[22:25], v37 offset:5120
	ds_load_b128 v[61:64], v37 offset:5376
	v_dot4_i32_iu8 v154, v70, v28, v154 neg_lo:[1,1,0]
	v_dot4_i32_iu8 v155, v70, v29, v155 neg_lo:[1,1,0]
	;; [unrolled: 1-line block ×10, first 2 shown]
	ds_load_b128 v[65:68], v38 offset:22016
	s_wait_dscnt 0x11
	v_dot4_i32_iu8 v169, v78, v26, v169 neg_lo:[1,1,0]
	v_dot4_i32_iu8 v184, v78, v27, v185 neg_lo:[1,1,0]
	;; [unrolled: 1-line block ×16, first 2 shown]
	ds_load_b128 v[26:29], v38 offset:22272
	v_dot4_i32_iu8 v174, v78, v32, v174 neg_lo:[1,1,0]
	v_dot4_i32_iu8 v159, v78, v33, v159 neg_lo:[1,1,0]
	;; [unrolled: 1-line block ×16, first 2 shown]
	s_wait_dscnt 0xf
	v_dot4_i32_iu8 v36, v90, v82, v36 neg_lo:[1,1,0]
	v_dot4_i32_iu8 v106, v90, v83, v106 neg_lo:[1,1,0]
	;; [unrolled: 1-line block ×22, first 2 shown]
	ds_load_b128 v[32:35], v37 offset:5632
	ds_load_b128 v[75:78], v37 offset:5888
	v_dot4_i32_iu8 v154, v93, v84, v154 neg_lo:[1,1,0]
	v_dot4_i32_iu8 v155, v93, v85, v155 neg_lo:[1,1,0]
	v_dot4_i32_iu8 v167, v92, v86, v167 neg_lo:[1,1,0]
	v_dot4_i32_iu8 v181, v92, v87, v181 neg_lo:[1,1,0]
	v_dot4_i32_iu8 v182, v92, v88, v182 neg_lo:[1,1,0]
	v_dot4_i32_iu8 v69, v92, v89, v69 neg_lo:[1,1,0]
	v_dot4_i32_iu8 v107, v93, v86, v107 neg_lo:[1,1,0]
	v_dot4_i32_iu8 v168, v93, v87, v168 neg_lo:[1,1,0]
	v_dot4_i32_iu8 v183, v93, v88, v183 neg_lo:[1,1,0]
	v_dot4_i32_iu8 v70, v93, v89, v70 neg_lo:[1,1,0]
	s_wait_dscnt 0x10
	v_dot4_i32_iu8 v169, v94, v82, v169 neg_lo:[1,1,0]
	v_dot4_i32_iu8 v184, v94, v83, v184 neg_lo:[1,1,0]
	v_dot4_i32_iu8 v134, v94, v84, v134 neg_lo:[1,1,0]
	v_dot4_i32_iu8 v135, v94, v85, v135 neg_lo:[1,1,0]
	v_dot4_i32_iu8 v185, v95, v82, v185 neg_lo:[1,1,0]
	v_dot4_i32_iu8 v136, v95, v83, v136 neg_lo:[1,1,0]
	v_dot4_i32_iu8 v137, v95, v84, v137 neg_lo:[1,1,0]
	v_dot4_i32_iu8 v152, v95, v85, v152 neg_lo:[1,1,0]
	v_dot4_i32_iu8 v186, v96, v82, v186 neg_lo:[1,1,0]
	v_dot4_i32_iu8 v153, v96, v83, v153 neg_lo:[1,1,0]
	v_dot4_i32_iu8 v187, v96, v84, v187 neg_lo:[1,1,0]
	v_dot4_i32_iu8 v188, v96, v85, v188 neg_lo:[1,1,0]
	v_dot4_i32_iu8 v158, v97, v82, v158 neg_lo:[1,1,0]
	v_dot4_i32_iu8 v189, v97, v83, v189 neg_lo:[1,1,0]
	v_dot4_i32_iu8 v190, v97, v84, v190 neg_lo:[1,1,0]
	v_dot4_i32_iu8 v191, v97, v85, v191 neg_lo:[1,1,0]
	v_dot4_i32_iu8 v174, v94, v86, v174 neg_lo:[1,1,0]
	v_dot4_i32_iu8 v159, v94, v87, v159 neg_lo:[1,1,0]
	v_dot4_i32_iu8 v160, v94, v88, v160 neg_lo:[1,1,0]
	v_dot4_i32_iu8 v161, v94, v89, v161 neg_lo:[1,1,0]
	v_dot4_i32_iu8 v170, v95, v86, v170 neg_lo:[1,1,0]
	v_dot4_i32_iu8 v175, v95, v87, v175 neg_lo:[1,1,0]
	v_dot4_i32_iu8 v138, v95, v88, v138 neg_lo:[1,1,0]
	v_dot4_i32_iu8 v171, v95, v89, v171 neg_lo:[1,1,0]
	v_dot4_i32_iu8 v139, v96, v86, v139 neg_lo:[1,1,0]
	v_dot4_i32_iu8 v142, v96, v87, v142 neg_lo:[1,1,0]
	v_dot4_i32_iu8 v143, v96, v88, v143 neg_lo:[1,1,0]
	v_dot4_i32_iu8 v172, v96, v89, v172 neg_lo:[1,1,0]
	v_dot4_i32_iu8 v176, v97, v86, v176 neg_lo:[1,1,0]
	v_dot4_i32_iu8 v87, v97, v87, v177 neg_lo:[1,1,0]
	v_dot4_i32_iu8 v88, v97, v88, v162 neg_lo:[1,1,0]
	v_dot4_i32_iu8 v30, v97, v89, v30 neg_lo:[1,1,0]
	s_wait_dscnt 0xd
	v_dot4_i32_iu8 v36, v110, v98, v36 neg_lo:[1,1,0]
	v_dot4_i32_iu8 v89, v110, v99, v106 neg_lo:[1,1,0]
	v_dot4_i32_iu8 v106, v110, v100, v144 neg_lo:[1,1,0]
	v_dot4_i32_iu8 v144, v110, v101, v145 neg_lo:[1,1,0]
	v_dot4_i32_iu8 v145, v111, v98, v146 neg_lo:[1,1,0]
	v_dot4_i32_iu8 v146, v111, v99, v147 neg_lo:[1,1,0]
	v_dot4_i32_iu8 v147, v111, v100, v148 neg_lo:[1,1,0]
	v_dot4_i32_iu8 v148, v111, v101, v149 neg_lo:[1,1,0]
	v_dot4_i32_iu8 v149, v112, v98, v163 neg_lo:[1,1,0]
	v_dot4_i32_iu8 v162, v112, v99, v164 neg_lo:[1,1,0]
	v_dot4_i32_iu8 v163, v112, v100, v165 neg_lo:[1,1,0]
	v_dot4_i32_iu8 v164, v112, v101, v173 neg_lo:[1,1,0]
	v_dot4_i32_iu8 v140, v113, v98, v140 neg_lo:[1,1,0]
	v_dot4_i32_iu8 v141, v113, v99, v141 neg_lo:[1,1,0]
	v_dot4_i32_iu8 v156, v110, v102, v156 neg_lo:[1,1,0]
	v_dot4_i32_iu8 v157, v110, v103, v157 neg_lo:[1,1,0]
	v_dot4_i32_iu8 v165, v110, v104, v178 neg_lo:[1,1,0]
	v_dot4_i32_iu8 v150, v110, v105, v150 neg_lo:[1,1,0]
	v_dot4_i32_iu8 v166, v111, v102, v166 neg_lo:[1,1,0]
	v_dot4_i32_iu8 v173, v111, v103, v179 neg_lo:[1,1,0]
	v_dot4_i32_iu8 v177, v111, v104, v180 neg_lo:[1,1,0]
	v_dot4_i32_iu8 v151, v111, v105, v151 neg_lo:[1,1,0]
	v_dot4_i32_iu8 v154, v113, v100, v154 neg_lo:[1,1,0]
	v_dot4_i32_iu8 v155, v113, v101, v155 neg_lo:[1,1,0]
	v_dot4_i32_iu8 v167, v112, v102, v167 neg_lo:[1,1,0]
	v_dot4_i32_iu8 v178, v112, v103, v181 neg_lo:[1,1,0]
	v_dot4_i32_iu8 v179, v112, v104, v182 neg_lo:[1,1,0]
	v_dot4_i32_iu8 v69, v112, v105, v69 neg_lo:[1,1,0]
	v_dot4_i32_iu8 v107, v113, v102, v107 neg_lo:[1,1,0]
	v_dot4_i32_iu8 v168, v113, v103, v168 neg_lo:[1,1,0]
	v_dot4_i32_iu8 v180, v113, v104, v183 neg_lo:[1,1,0]
	v_dot4_i32_iu8 v70, v113, v105, v70 neg_lo:[1,1,0]
	s_wait_dscnt 0xc
	v_dot4_i32_iu8 v169, v114, v98, v169 neg_lo:[1,1,0]
	v_dot4_i32_iu8 v181, v114, v99, v184 neg_lo:[1,1,0]
	v_dot4_i32_iu8 v134, v114, v100, v134 neg_lo:[1,1,0]
	v_dot4_i32_iu8 v135, v114, v101, v135 neg_lo:[1,1,0]
	v_dot4_i32_iu8 v182, v115, v98, v185 neg_lo:[1,1,0]
	v_dot4_i32_iu8 v136, v115, v99, v136 neg_lo:[1,1,0]
	v_dot4_i32_iu8 v137, v115, v100, v137 neg_lo:[1,1,0]
	v_dot4_i32_iu8 v152, v115, v101, v152 neg_lo:[1,1,0]
	v_dot4_i32_iu8 v183, v116, v98, v186 neg_lo:[1,1,0]
	v_dot4_i32_iu8 v153, v116, v99, v153 neg_lo:[1,1,0]
	v_dot4_i32_iu8 v184, v116, v100, v187 neg_lo:[1,1,0]
	v_dot4_i32_iu8 v185, v116, v101, v188 neg_lo:[1,1,0]
	v_dot4_i32_iu8 v158, v117, v98, v158 neg_lo:[1,1,0]
	v_dot4_i32_iu8 v186, v117, v99, v189 neg_lo:[1,1,0]
	v_dot4_i32_iu8 v187, v117, v100, v190 neg_lo:[1,1,0]
	v_dot4_i32_iu8 v188, v117, v101, v191 neg_lo:[1,1,0]
	v_dot4_i32_iu8 v174, v114, v102, v174 neg_lo:[1,1,0]
	v_dot4_i32_iu8 v159, v114, v103, v159 neg_lo:[1,1,0]
	v_dot4_i32_iu8 v160, v114, v104, v160 neg_lo:[1,1,0]
	v_dot4_i32_iu8 v161, v114, v105, v161 neg_lo:[1,1,0]
	v_dot4_i32_iu8 v170, v115, v102, v170 neg_lo:[1,1,0]
	v_dot4_i32_iu8 v175, v115, v103, v175 neg_lo:[1,1,0]
	v_dot4_i32_iu8 v138, v115, v104, v138 neg_lo:[1,1,0]
	v_dot4_i32_iu8 v171, v115, v105, v171 neg_lo:[1,1,0]
	v_dot4_i32_iu8 v139, v116, v102, v139 neg_lo:[1,1,0]
	v_dot4_i32_iu8 v142, v116, v103, v142 neg_lo:[1,1,0]
	v_dot4_i32_iu8 v143, v116, v104, v143 neg_lo:[1,1,0]
	v_dot4_i32_iu8 v172, v116, v105, v172 neg_lo:[1,1,0]
	v_dot4_i32_iu8 v176, v117, v102, v176 neg_lo:[1,1,0]
	v_dot4_i32_iu8 v87, v117, v103, v87 neg_lo:[1,1,0]
	v_dot4_i32_iu8 v88, v117, v104, v88 neg_lo:[1,1,0]
	v_dot4_i32_iu8 v30, v117, v105, v30 neg_lo:[1,1,0]
	s_wait_dscnt 0x9
	v_dot4_i32_iu8 v36, v126, v118, v36 neg_lo:[1,1,0]
	v_dot4_i32_iu8 v89, v126, v119, v89 neg_lo:[1,1,0]
	v_dot4_i32_iu8 v106, v126, v120, v106 neg_lo:[1,1,0]
	v_dot4_i32_iu8 v144, v126, v121, v144 neg_lo:[1,1,0]
	v_dot4_i32_iu8 v145, v127, v118, v145 neg_lo:[1,1,0]
	v_dot4_i32_iu8 v146, v127, v119, v146 neg_lo:[1,1,0]
	v_dot4_i32_iu8 v147, v127, v120, v147 neg_lo:[1,1,0]
	v_dot4_i32_iu8 v148, v127, v121, v148 neg_lo:[1,1,0]
	v_dot4_i32_iu8 v140, v129, v118, v140 neg_lo:[1,1,0]
	v_dot4_i32_iu8 v141, v129, v119, v141 neg_lo:[1,1,0]
	v_dot4_i32_iu8 v156, v126, v122, v156 neg_lo:[1,1,0]
	v_dot4_i32_iu8 v157, v126, v123, v157 neg_lo:[1,1,0]
	v_dot4_i32_iu8 v165, v126, v124, v165 neg_lo:[1,1,0]
	v_dot4_i32_iu8 v150, v126, v125, v150 neg_lo:[1,1,0]
	v_dot4_i32_iu8 v166, v127, v122, v166 neg_lo:[1,1,0]
	v_dot4_i32_iu8 v173, v127, v123, v173 neg_lo:[1,1,0]
	v_dot4_i32_iu8 v177, v127, v124, v177 neg_lo:[1,1,0]
	v_dot4_i32_iu8 v151, v127, v125, v151 neg_lo:[1,1,0]
	v_dot4_i32_iu8 v149, v128, v118, v149 neg_lo:[1,1,0]
	v_dot4_i32_iu8 v162, v128, v119, v162 neg_lo:[1,1,0]
	v_dot4_i32_iu8 v163, v128, v120, v163 neg_lo:[1,1,0]
	v_dot4_i32_iu8 v164, v128, v121, v164 neg_lo:[1,1,0]
	v_dot4_i32_iu8 v154, v129, v120, v154 neg_lo:[1,1,0]
	v_dot4_i32_iu8 v155, v129, v121, v155 neg_lo:[1,1,0]
	v_dot4_i32_iu8 v167, v128, v122, v167 neg_lo:[1,1,0]
	v_dot4_i32_iu8 v178, v128, v123, v178 neg_lo:[1,1,0]
	v_dot4_i32_iu8 v179, v128, v124, v179 neg_lo:[1,1,0]
	v_dot4_i32_iu8 v69, v128, v125, v69 neg_lo:[1,1,0]
	v_dot4_i32_iu8 v107, v129, v122, v107 neg_lo:[1,1,0]
	v_dot4_i32_iu8 v168, v129, v123, v168 neg_lo:[1,1,0]
	v_dot4_i32_iu8 v180, v129, v124, v180 neg_lo:[1,1,0]
	v_dot4_i32_iu8 v70, v129, v125, v70 neg_lo:[1,1,0]
	s_wait_dscnt 0x8
	v_dot4_i32_iu8 v169, v130, v118, v169 neg_lo:[1,1,0]
	v_dot4_i32_iu8 v181, v130, v119, v181 neg_lo:[1,1,0]
	v_dot4_i32_iu8 v189, v130, v120, v134 neg_lo:[1,1,0]
	v_dot4_i32_iu8 v190, v130, v121, v135 neg_lo:[1,1,0]
	v_dot4_i32_iu8 v182, v131, v118, v182 neg_lo:[1,1,0]
	v_dot4_i32_iu8 v191, v131, v119, v136 neg_lo:[1,1,0]
	v_dot4_i32_iu8 v192, v131, v120, v137 neg_lo:[1,1,0]
	v_dot4_i32_iu8 v152, v131, v121, v152 neg_lo:[1,1,0]
	v_dot4_i32_iu8 v183, v132, v118, v183 neg_lo:[1,1,0]
	v_dot4_i32_iu8 v153, v132, v119, v153 neg_lo:[1,1,0]
	v_dot4_i32_iu8 v184, v132, v120, v184 neg_lo:[1,1,0]
	v_dot4_i32_iu8 v185, v132, v121, v185 neg_lo:[1,1,0]
	v_dot4_i32_iu8 v158, v133, v118, v158 neg_lo:[1,1,0]
	v_dot4_i32_iu8 v186, v133, v119, v186 neg_lo:[1,1,0]
	v_dot4_i32_iu8 v187, v133, v120, v187 neg_lo:[1,1,0]
	v_dot4_i32_iu8 v188, v133, v121, v188 neg_lo:[1,1,0]
	v_dot4_i32_iu8 v174, v130, v122, v174 neg_lo:[1,1,0]
	v_dot4_i32_iu8 v159, v130, v123, v159 neg_lo:[1,1,0]
	v_dot4_i32_iu8 v160, v130, v124, v160 neg_lo:[1,1,0]
	v_dot4_i32_iu8 v161, v130, v125, v161 neg_lo:[1,1,0]
	v_dot4_i32_iu8 v170, v131, v122, v170 neg_lo:[1,1,0]
	v_dot4_i32_iu8 v175, v131, v123, v175 neg_lo:[1,1,0]
	v_dot4_i32_iu8 v193, v131, v124, v138 neg_lo:[1,1,0]
	v_dot4_i32_iu8 v171, v131, v125, v171 neg_lo:[1,1,0]
	;; [unrolled: 1-line block ×10, first 2 shown]
	s_wait_dscnt 0x5
	v_dot4_i32_iu8 v36, v22, v18, v36 neg_lo:[1,1,0]
	v_dot4_i32_iu8 v89, v22, v19, v89 neg_lo:[1,1,0]
	v_dot4_i32_iu8 v106, v22, v20, v106 neg_lo:[1,1,0]
	v_dot4_i32_iu8 v144, v22, v21, v144 neg_lo:[1,1,0]
	v_dot4_i32_iu8 v145, v23, v18, v145 neg_lo:[1,1,0]
	v_dot4_i32_iu8 v146, v23, v19, v146 neg_lo:[1,1,0]
	v_dot4_i32_iu8 v147, v23, v20, v147 neg_lo:[1,1,0]
	v_dot4_i32_iu8 v148, v23, v21, v148 neg_lo:[1,1,0]
	v_dot4_i32_iu8 v195, v25, v18, v140 neg_lo:[1,1,0]
	v_dot4_i32_iu8 v196, v25, v19, v141 neg_lo:[1,1,0]
	v_dot4_i32_iu8 v156, v22, v71, v156 neg_lo:[1,1,0]
	v_dot4_i32_iu8 v157, v22, v72, v157 neg_lo:[1,1,0]
	v_dot4_i32_iu8 v165, v22, v73, v165 neg_lo:[1,1,0]
	v_dot4_i32_iu8 v22, v22, v74, v150 neg_lo:[1,1,0]
	v_dot4_i32_iu8 v150, v23, v71, v166 neg_lo:[1,1,0]
	v_dot4_i32_iu8 v166, v23, v72, v173 neg_lo:[1,1,0]
	v_dot4_i32_iu8 v173, v23, v73, v177 neg_lo:[1,1,0]
	v_dot4_i32_iu8 v23, v23, v74, v151 neg_lo:[1,1,0]
	v_add_nc_u32_e32 v108, v45, v47
	ds_load_b128 v[90:93], v38 offset:22528
	ds_load_b128 v[79:82], v38 offset:22784
	;; [unrolled: 1-line block ×12, first 2 shown]
	v_dot4_i32_iu8 v149, v24, v18, v149 neg_lo:[1,1,0]
	v_dot4_i32_iu8 v162, v24, v19, v162 neg_lo:[1,1,0]
	;; [unrolled: 1-line block ×14, first 2 shown]
	ds_load_b128 v[134:137], v38 offset:24064
	ds_load_b128 v[138:141], v38 offset:24320
	s_wait_dscnt 0x12
	v_dot4_i32_iu8 v169, v61, v18, v169 neg_lo:[1,1,0]
	v_dot4_i32_iu8 v179, v61, v19, v181 neg_lo:[1,1,0]
	;; [unrolled: 1-line block ×32, first 2 shown]
	ds_load_b128 v[61:64], v37 offset:7680
	ds_load_b128 v[69:72], v37 offset:7936
	s_wait_dscnt 0x11
	v_dot4_i32_iu8 v88, v32, v65, v36 neg_lo:[1,1,0]
	v_dot4_i32_iu8 v89, v32, v66, v89 neg_lo:[1,1,0]
	;; [unrolled: 1-line block ×18, first 2 shown]
	s_clause 0x1
	buffer_load_b128 v[30:33], v31, s[40:43], null offen
	buffer_load_b128 v[142:145], v108, s[40:43], null offen
	v_dot4_i32_iu8 v149, v34, v65, v149 neg_lo:[1,1,0]
	v_dot4_i32_iu8 v162, v34, v66, v162 neg_lo:[1,1,0]
	;; [unrolled: 1-line block ×14, first 2 shown]
	s_wait_dscnt 0x10
	v_dot4_i32_iu8 v35, v75, v65, v169 neg_lo:[1,1,0]
	v_dot4_i32_iu8 v169, v75, v66, v179 neg_lo:[1,1,0]
	;; [unrolled: 1-line block ×11, first 2 shown]
	buffer_load_b128 v[20:23], v109, s[36:39], null offen
	v_add3_u32 v36, v16, v17, v109
	v_dot4_i32_iu8 v181, v76, v66, v189 neg_lo:[1,1,0]
	v_dot4_i32_iu8 v183, v77, v65, v183 neg_lo:[1,1,0]
	;; [unrolled: 1-line block ×5, first 2 shown]
	buffer_load_b128 v[16:19], v36, s[36:39], null offen
	v_dot4_i32_iu8 v108, v75, v26, v158 neg_lo:[1,1,0]
	v_dot4_i32_iu8 v109, v75, v27, v159 neg_lo:[1,1,0]
	v_dot4_i32_iu8 v158, v75, v28, v160 neg_lo:[1,1,0]
	v_dot4_i32_iu8 v75, v75, v29, v161 neg_lo:[1,1,0]
	v_dot4_i32_iu8 v159, v76, v26, v170 neg_lo:[1,1,0]
	v_dot4_i32_iu8 v160, v76, v27, v174 neg_lo:[1,1,0]
	v_dot4_i32_iu8 v161, v76, v28, v175 neg_lo:[1,1,0]
	v_dot4_i32_iu8 v76, v76, v29, v171 neg_lo:[1,1,0]
	v_dot4_i32_iu8 v170, v77, v26, v186 neg_lo:[1,1,0]
	v_dot4_i32_iu8 v171, v77, v27, v187 neg_lo:[1,1,0]
	v_dot4_i32_iu8 v174, v77, v28, v188 neg_lo:[1,1,0]
	v_dot4_i32_iu8 v77, v77, v29, v172 neg_lo:[1,1,0]
	v_dot4_i32_iu8 v26, v78, v26, v176 neg_lo:[1,1,0]
	v_dot4_i32_iu8 v27, v78, v27, v87 neg_lo:[1,1,0]
	v_dot4_i32_iu8 v28, v78, v28, v73 neg_lo:[1,1,0]
	v_dot4_i32_iu8 v29, v78, v29, v74 neg_lo:[1,1,0]
	s_wait_dscnt 0xd
	v_dot4_i32_iu8 v73, v83, v90, v88 neg_lo:[1,1,0]
	v_dot4_i32_iu8 v74, v83, v91, v89 neg_lo:[1,1,0]
	v_dot4_i32_iu8 v78, v83, v92, v106 neg_lo:[1,1,0]
	v_dot4_i32_iu8 v87, v83, v93, v191 neg_lo:[1,1,0]
	v_dot4_i32_iu8 v88, v84, v90, v192 neg_lo:[1,1,0]
	v_dot4_i32_iu8 v89, v84, v91, v146 neg_lo:[1,1,0]
	v_dot4_i32_iu8 v106, v84, v92, v147 neg_lo:[1,1,0]
	v_dot4_i32_iu8 v146, v84, v93, v148 neg_lo:[1,1,0]
	v_dot4_i32_iu8 v147, v85, v90, v149 neg_lo:[1,1,0]
	v_dot4_i32_iu8 v148, v85, v91, v162 neg_lo:[1,1,0]
	v_dot4_i32_iu8 v149, v85, v92, v163 neg_lo:[1,1,0]
	v_dot4_i32_iu8 v162, v85, v93, v164 neg_lo:[1,1,0]
	v_dot4_i32_iu8 v163, v86, v90, v193 neg_lo:[1,1,0]
	v_dot4_i32_iu8 v164, v86, v91, v194 neg_lo:[1,1,0]
	v_dot4_i32_iu8 v154, v86, v92, v154 neg_lo:[1,1,0]
	v_dot4_i32_iu8 v155, v86, v93, v155 neg_lo:[1,1,0]
	v_dot4_i32_iu8 v156, v83, v79, v156 neg_lo:[1,1,0]
	v_dot4_i32_iu8 v157, v83, v80, v157 neg_lo:[1,1,0]
	v_dot4_i32_iu8 v165, v83, v81, v165 neg_lo:[1,1,0]
	v_dot4_i32_iu8 v83, v83, v82, v195 neg_lo:[1,1,0]
	v_dot4_i32_iu8 v150, v84, v79, v150 neg_lo:[1,1,0]
	v_dot4_i32_iu8 v166, v84, v80, v166 neg_lo:[1,1,0]
	v_dot4_i32_iu8 v172, v84, v81, v173 neg_lo:[1,1,0]
	v_dot4_i32_iu8 v84, v84, v82, v196 neg_lo:[1,1,0]
	v_dot4_i32_iu8 v151, v85, v79, v151 neg_lo:[1,1,0]
	v_dot4_i32_iu8 v167, v85, v80, v167 neg_lo:[1,1,0]
	v_dot4_i32_iu8 v173, v85, v81, v177 neg_lo:[1,1,0]
	v_dot4_i32_iu8 v24, v85, v82, v24 neg_lo:[1,1,0]
	v_dot4_i32_iu8 v34, v86, v79, v34 neg_lo:[1,1,0]
	v_dot4_i32_iu8 v85, v86, v80, v107 neg_lo:[1,1,0]
	v_dot4_i32_iu8 v107, v86, v81, v168 neg_lo:[1,1,0]
	v_dot4_i32_iu8 v25, v86, v82, v25 neg_lo:[1,1,0]
	s_wait_dscnt 0xc
	v_dot4_i32_iu8 v35, v94, v90, v35 neg_lo:[1,1,0]
	v_dot4_i32_iu8 v86, v94, v91, v169 neg_lo:[1,1,0]
	v_dot4_i32_iu8 v168, v94, v92, v178 neg_lo:[1,1,0]
	v_dot4_i32_iu8 v169, v94, v93, v179 neg_lo:[1,1,0]
	v_dot4_i32_iu8 v175, v95, v90, v180 neg_lo:[1,1,0]
	v_dot4_i32_iu8 v176, v95, v91, v181 neg_lo:[1,1,0]
	v_dot4_i32_iu8 v177, v95, v92, v182 neg_lo:[1,1,0]
	v_dot4_i32_iu8 v152, v95, v93, v152 neg_lo:[1,1,0]
	v_dot4_i32_iu8 v178, v96, v90, v183 neg_lo:[1,1,0]
	v_dot4_i32_iu8 v153, v96, v91, v153 neg_lo:[1,1,0]
	v_dot4_i32_iu8 v179, v96, v92, v184 neg_lo:[1,1,0]
	v_dot4_i32_iu8 v180, v96, v93, v185 neg_lo:[1,1,0]
	v_dot4_i32_iu8 v65, v97, v90, v65 neg_lo:[1,1,0]
	v_dot4_i32_iu8 v66, v97, v91, v66 neg_lo:[1,1,0]
	v_dot4_i32_iu8 v67, v97, v92, v67 neg_lo:[1,1,0]
	v_dot4_i32_iu8 v68, v97, v93, v68 neg_lo:[1,1,0]
	;; [unrolled: 33-line block ×4, first 2 shown]
	v_dot4_i32_iu8 v90, v114, v98, v90 neg_lo:[1,1,0]
	v_dot4_i32_iu8 v91, v114, v99, v91 neg_lo:[1,1,0]
	v_dot4_i32_iu8 v92, v114, v100, v92 neg_lo:[1,1,0]
	v_dot4_i32_iu8 v75, v114, v101, v75 neg_lo:[1,1,0]
	v_dot4_i32_iu8 v93, v115, v98, v93 neg_lo:[1,1,0]
	v_dot4_i32_iu8 v94, v115, v99, v94 neg_lo:[1,1,0]
	v_dot4_i32_iu8 v108, v115, v100, v108 neg_lo:[1,1,0]
	v_dot4_i32_iu8 v76, v115, v101, v76 neg_lo:[1,1,0]
	v_dot4_i32_iu8 v95, v116, v98, v95 neg_lo:[1,1,0]
	v_dot4_i32_iu8 v109, v116, v99, v109 neg_lo:[1,1,0]
	v_dot4_i32_iu8 v110, v116, v100, v158 neg_lo:[1,1,0]
	v_dot4_i32_iu8 v77, v116, v101, v77 neg_lo:[1,1,0]
	v_dot4_i32_iu8 v26, v117, v98, v26 neg_lo:[1,1,0]
	v_dot4_i32_iu8 v27, v117, v99, v27 neg_lo:[1,1,0]
	v_dot4_i32_iu8 v28, v117, v100, v28 neg_lo:[1,1,0]
	v_dot4_i32_iu8 v29, v117, v101, v29 neg_lo:[1,1,0]
	s_and_b32 s14, s12, s14
	s_wait_loadcnt 0x7
	v_cndmask_b32_e64 v5, 0, v5, s7
	v_cndmask_b32_e64 v4, 0, v4, s7
	s_and_b32 s4, s71, s13
	s_and_b32 s14, s69, s14
	v_cndmask_b32_e64 v7, 0, v7, s7
	v_cndmask_b32_e64 v6, 0, v6, s7
	s_wait_loadcnt 0x6
	v_cndmask_b32_e64 v1, 0, v1, s3
	v_cndmask_b32_e64 v0, 0, v0, s3
	v_cmp_gt_i32_e64 s5, s51, v48
	s_wait_alu 0xfffe
	s_and_b32 s4, s2, s4
	s_and_b32 s11, s11, s9
	;; [unrolled: 1-line block ×3, first 2 shown]
	s_wait_dscnt 0x5
	v_dot4_i32_iu8 v73, v122, v126, v73 neg_lo:[1,1,0]
	v_dot4_i32_iu8 v74, v122, v127, v74 neg_lo:[1,1,0]
	;; [unrolled: 1-line block ×32, first 2 shown]
	s_wait_dscnt 0x4
	v_dot4_i32_iu8 v35, v130, v126, v35 neg_lo:[1,1,0]
	v_dot4_i32_iu8 v86, v130, v127, v86 neg_lo:[1,1,0]
	;; [unrolled: 1-line block ×32, first 2 shown]
	v_cndmask_b32_e64 v3, 0, v3, s3
	v_cndmask_b32_e64 v2, 0, v2, s3
	ds_store_2addr_stride64_b32 v46, v4, v5 offset0:96 offset1:98
	ds_store_2addr_stride64_b32 v46, v6, v7 offset0:100 offset1:102
	;; [unrolled: 1-line block ×4, first 2 shown]
	s_wait_loadcnt 0x5
	s_wait_alu 0xfffe
	v_cndmask_b32_e64 v2, 0, v9, s4
	v_cndmask_b32_e64 v3, 0, v8, s4
	s_wait_loadcnt 0x4
	v_cndmask_b32_e64 v6, 0, v13, s9
	v_cndmask_b32_e64 v7, 0, v12, s9
	v_cmp_gt_i32_e64 s6, s51, v47
	v_cndmask_b32_e64 v0, 0, v11, s4
	v_cndmask_b32_e64 v1, 0, v10, s4
	;; [unrolled: 1-line block ×4, first 2 shown]
	s_and_b32 s13, vcc_lo, s5
	s_wait_dscnt 0x5
	v_dot4_i32_iu8 v132, v61, v134, v73 neg_lo:[1,1,0]
	v_dot4_i32_iu8 v133, v61, v135, v74 neg_lo:[1,1,0]
	;; [unrolled: 1-line block ×32, first 2 shown]
	s_wait_dscnt 0x4
	v_dot4_i32_iu8 v177, v69, v134, v35 neg_lo:[1,1,0]
	v_dot4_i32_iu8 v178, v69, v135, v86 neg_lo:[1,1,0]
	;; [unrolled: 1-line block ×32, first 2 shown]
	ds_store_2addr_stride64_b32 v46, v3, v2 offset0:32 offset1:34
	ds_store_2addr_stride64_b32 v46, v1, v0 offset0:36 offset1:38
	s_wait_loadcnt 0x3
	s_wait_alu 0xfffe
	v_cndmask_b32_e64 v65, 0, v33, s13
	v_cndmask_b32_e64 v66, 0, v32, s13
	;; [unrolled: 1-line block ×4, first 2 shown]
	ds_store_2addr_stride64_b32 v46, v7, v6 offset0:40 offset1:42
	ds_store_2addr_stride64_b32 v46, v5, v4 offset0:44 offset1:46
	s_wait_dscnt 0x0
	s_barrier_signal -1
	s_barrier_wait -1
	ds_load_b128 v[0:3], v37 offset:8192
	ds_load_b128 v[4:7], v38 offset:24576
	;; [unrolled: 1-line block ×21, first 2 shown]
	s_and_b32 s12, vcc_lo, s6
	s_wait_dscnt 0x13
	v_dot4_i32_iu8 v132, v0, v4, v132 neg_lo:[1,1,0]
	s_wait_loadcnt 0x2
	s_wait_alu 0xfffe
	v_cndmask_b32_e64 v61, 0, v145, s12
	v_cndmask_b32_e64 v62, 0, v144, s12
	;; [unrolled: 1-line block ×4, first 2 shown]
	v_dot4_i32_iu8 v133, v0, v5, v133 neg_lo:[1,1,0]
	v_dot4_i32_iu8 v142, v0, v6, v149 neg_lo:[1,1,0]
	;; [unrolled: 1-line block ×15, first 2 shown]
	s_wait_dscnt 0x12
	v_dot4_i32_iu8 v106, v0, v8, v106 neg_lo:[1,1,0]
	v_dot4_i32_iu8 v111, v0, v9, v111 neg_lo:[1,1,0]
	;; [unrolled: 1-line block ×16, first 2 shown]
	s_wait_dscnt 0x11
	v_dot4_i32_iu8 v173, v12, v4, v177 neg_lo:[1,1,0]
	v_dot4_i32_iu8 v174, v12, v5, v178 neg_lo:[1,1,0]
	;; [unrolled: 1-line block ×32, first 2 shown]
	ds_load_b128 v[0:3], v38 offset:27136
	ds_load_b128 v[4:7], v38 offset:27392
	s_wait_dscnt 0x10
	v_dot4_i32_iu8 v191, v32, v24, v132 neg_lo:[1,1,0]
	v_dot4_i32_iu8 v192, v32, v25, v133 neg_lo:[1,1,0]
	;; [unrolled: 1-line block ×32, first 2 shown]
	s_wait_dscnt 0xf
	v_dot4_i32_iu8 v169, v69, v24, v173 neg_lo:[1,1,0]
	v_dot4_i32_iu8 v170, v69, v25, v174 neg_lo:[1,1,0]
	v_dot4_i32_iu8 v105, v69, v26, v105 neg_lo:[1,1,0]
	v_dot4_i32_iu8 v107, v69, v27, v107 neg_lo:[1,1,0]
	v_dot4_i32_iu8 v171, v70, v24, v175 neg_lo:[1,1,0]
	v_dot4_i32_iu8 v172, v70, v25, v176 neg_lo:[1,1,0]
	v_dot4_i32_iu8 v173, v70, v26, v177 neg_lo:[1,1,0]
	v_dot4_i32_iu8 v174, v70, v27, v178 neg_lo:[1,1,0]
	v_dot4_i32_iu8 v175, v71, v24, v179 neg_lo:[1,1,0]
	v_dot4_i32_iu8 v146, v71, v25, v146 neg_lo:[1,1,0]
	v_dot4_i32_iu8 v147, v71, v26, v147 neg_lo:[1,1,0]
	v_dot4_i32_iu8 v148, v71, v27, v148 neg_lo:[1,1,0]
	v_dot4_i32_iu8 v176, v72, v24, v180 neg_lo:[1,1,0]
	v_dot4_i32_iu8 v177, v72, v25, v181 neg_lo:[1,1,0]
	v_dot4_i32_iu8 v136, v72, v26, v136 neg_lo:[1,1,0]
	v_dot4_i32_iu8 v137, v72, v27, v137 neg_lo:[1,1,0]
	v_dot4_i32_iu8 v178, v69, v28, v182 neg_lo:[1,1,0]
	v_dot4_i32_iu8 v179, v69, v29, v183 neg_lo:[1,1,0]
	v_dot4_i32_iu8 v180, v69, v30, v184 neg_lo:[1,1,0]
	v_dot4_i32_iu8 v181, v69, v31, v185 neg_lo:[1,1,0]
	v_dot4_i32_iu8 v182, v70, v28, v186 neg_lo:[1,1,0]
	v_dot4_i32_iu8 v183, v70, v29, v187 neg_lo:[1,1,0]
	v_dot4_i32_iu8 v108, v70, v30, v108 neg_lo:[1,1,0]
	v_dot4_i32_iu8 v184, v70, v31, v188 neg_lo:[1,1,0]
	v_dot4_i32_iu8 v185, v71, v28, v189 neg_lo:[1,1,0]
	v_dot4_i32_iu8 v109, v71, v29, v109 neg_lo:[1,1,0]
	v_dot4_i32_iu8 v110, v71, v30, v110 neg_lo:[1,1,0]
	v_dot4_i32_iu8 v186, v71, v31, v190 neg_lo:[1,1,0]
	v_dot4_i32_iu8 v138, v72, v28, v138 neg_lo:[1,1,0]
	v_dot4_i32_iu8 v139, v72, v29, v139 neg_lo:[1,1,0]
	v_dot4_i32_iu8 v140, v72, v30, v140 neg_lo:[1,1,0]
	v_dot4_i32_iu8 v141, v72, v31, v141 neg_lo:[1,1,0]
	v_cmp_gt_i32_e64 s6, s27, v59
	ds_load_b128 v[8:11], v37 offset:11008
	ds_load_b128 v[12:15], v37 offset:11264
	v_cmp_le_i32_e64 s5, s66, v59
	s_and_b32 s10, s11, s10
	ds_load_b128 v[132:135], v38 offset:27648
	ds_load_b128 v[24:27], v38 offset:27904
	s_wait_dscnt 0x10
	v_dot4_i32_iu8 v187, v81, v73, v191 neg_lo:[1,1,0]
	v_dot4_i32_iu8 v188, v81, v74, v192 neg_lo:[1,1,0]
	;; [unrolled: 1-line block ×32, first 2 shown]
	s_wait_dscnt 0xf
	v_dot4_i32_iu8 v169, v85, v73, v169 neg_lo:[1,1,0]
	v_dot4_i32_iu8 v170, v85, v74, v170 neg_lo:[1,1,0]
	;; [unrolled: 1-line block ×32, first 2 shown]
	s_wait_alu 0xfffe
	s_and_b32 s10, s70, s10
	s_and_b32 s6, s6, s8
	ds_load_b128 v[28:31], v37 offset:11520
	ds_load_b128 v[69:72], v37 offset:11776
	s_wait_alu 0xfffe
	s_and_b32 s5, s6, s5
	s_and_b32 s6, s2, s10
	ds_load_b128 v[81:84], v38 offset:28160
	ds_load_b128 v[73:76], v38 offset:28416
	;; [unrolled: 1-line block ×4, first 2 shown]
	s_wait_loadcnt 0x1
	s_wait_alu 0xfffe
	v_cndmask_b32_e64 v108, 0, v23, s6
	v_cndmask_b32_e64 v109, 0, v22, s6
	v_cndmask_b32_e64 v110, 0, v21, s6
	v_cndmask_b32_e64 v111, 0, v20, s6
	s_wait_dscnt 0x12
	v_dot4_i32_iu8 v20, v97, v89, v187 neg_lo:[1,1,0]
	v_dot4_i32_iu8 v21, v97, v90, v188 neg_lo:[1,1,0]
	v_dot4_i32_iu8 v22, v97, v91, v142 neg_lo:[1,1,0]
	v_dot4_i32_iu8 v23, v97, v92, v143 neg_lo:[1,1,0]
	v_dot4_i32_iu8 v142, v98, v89, v144 neg_lo:[1,1,0]
	v_dot4_i32_iu8 v143, v98, v90, v145 neg_lo:[1,1,0]
	v_dot4_i32_iu8 v144, v98, v91, v149 neg_lo:[1,1,0]
	v_dot4_i32_iu8 v145, v98, v92, v150 neg_lo:[1,1,0]
	v_dot4_i32_iu8 v149, v99, v89, v151 neg_lo:[1,1,0]
	v_dot4_i32_iu8 v150, v99, v90, v152 neg_lo:[1,1,0]
	v_dot4_i32_iu8 v151, v99, v91, v153 neg_lo:[1,1,0]
	v_dot4_i32_iu8 v152, v99, v92, v154 neg_lo:[1,1,0]
	v_dot4_i32_iu8 v153, v100, v89, v155 neg_lo:[1,1,0]
	v_dot4_i32_iu8 v154, v100, v90, v156 neg_lo:[1,1,0]
	v_dot4_i32_iu8 v155, v100, v91, v157 neg_lo:[1,1,0]
	v_dot4_i32_iu8 v156, v100, v92, v158 neg_lo:[1,1,0]
	v_dot4_i32_iu8 v106, v97, v93, v106 neg_lo:[1,1,0]
	v_dot4_i32_iu8 v157, v97, v94, v189 neg_lo:[1,1,0]
	v_dot4_i32_iu8 v158, v97, v95, v159 neg_lo:[1,1,0]
	v_dot4_i32_iu8 v32, v97, v96, v32 neg_lo:[1,1,0]
	v_dot4_i32_iu8 v159, v98, v93, v160 neg_lo:[1,1,0]
	v_dot4_i32_iu8 v160, v98, v94, v161 neg_lo:[1,1,0]
	v_dot4_i32_iu8 v161, v98, v95, v162 neg_lo:[1,1,0]
	v_dot4_i32_iu8 v33, v98, v96, v33 neg_lo:[1,1,0]
	v_dot4_i32_iu8 v162, v99, v93, v163 neg_lo:[1,1,0]
	v_dot4_i32_iu8 v163, v99, v94, v164 neg_lo:[1,1,0]
	v_dot4_i32_iu8 v164, v99, v95, v165 neg_lo:[1,1,0]
	v_dot4_i32_iu8 v34, v99, v96, v34 neg_lo:[1,1,0]
	v_dot4_i32_iu8 v165, v100, v93, v166 neg_lo:[1,1,0]
	v_dot4_i32_iu8 v166, v100, v94, v167 neg_lo:[1,1,0]
	v_dot4_i32_iu8 v167, v100, v95, v168 neg_lo:[1,1,0]
	v_dot4_i32_iu8 v35, v100, v96, v35 neg_lo:[1,1,0]
	s_wait_dscnt 0x11
	v_dot4_i32_iu8 v168, v101, v89, v169 neg_lo:[1,1,0]
	v_dot4_i32_iu8 v169, v101, v90, v170 neg_lo:[1,1,0]
	v_dot4_i32_iu8 v105, v101, v91, v105 neg_lo:[1,1,0]
	v_dot4_i32_iu8 v107, v101, v92, v107 neg_lo:[1,1,0]
	v_dot4_i32_iu8 v170, v102, v89, v171 neg_lo:[1,1,0]
	v_dot4_i32_iu8 v171, v102, v90, v172 neg_lo:[1,1,0]
	v_dot4_i32_iu8 v172, v102, v91, v173 neg_lo:[1,1,0]
	v_dot4_i32_iu8 v173, v102, v92, v174 neg_lo:[1,1,0]
	v_dot4_i32_iu8 v174, v103, v89, v175 neg_lo:[1,1,0]
	v_dot4_i32_iu8 v146, v103, v90, v146 neg_lo:[1,1,0]
	v_dot4_i32_iu8 v147, v103, v91, v147 neg_lo:[1,1,0]
	v_dot4_i32_iu8 v148, v103, v92, v148 neg_lo:[1,1,0]
	v_dot4_i32_iu8 v175, v104, v89, v176 neg_lo:[1,1,0]
	v_dot4_i32_iu8 v176, v104, v90, v177 neg_lo:[1,1,0]
	v_dot4_i32_iu8 v136, v104, v91, v136 neg_lo:[1,1,0]
	v_dot4_i32_iu8 v137, v104, v92, v137 neg_lo:[1,1,0]
	v_dot4_i32_iu8 v177, v101, v93, v178 neg_lo:[1,1,0]
	v_dot4_i32_iu8 v178, v101, v94, v179 neg_lo:[1,1,0]
	v_dot4_i32_iu8 v179, v101, v95, v180 neg_lo:[1,1,0]
	v_dot4_i32_iu8 v180, v101, v96, v181 neg_lo:[1,1,0]
	v_dot4_i32_iu8 v181, v102, v93, v182 neg_lo:[1,1,0]
	v_dot4_i32_iu8 v182, v102, v94, v183 neg_lo:[1,1,0]
	v_dot4_i32_iu8 v183, v102, v95, v190 neg_lo:[1,1,0]
	v_dot4_i32_iu8 v184, v102, v96, v184 neg_lo:[1,1,0]
	v_dot4_i32_iu8 v185, v103, v93, v185 neg_lo:[1,1,0]
	v_dot4_i32_iu8 v187, v103, v94, v191 neg_lo:[1,1,0]
	v_dot4_i32_iu8 v188, v103, v95, v192 neg_lo:[1,1,0]
	v_dot4_i32_iu8 v186, v103, v96, v186 neg_lo:[1,1,0]
	v_dot4_i32_iu8 v138, v104, v93, v138 neg_lo:[1,1,0]
	v_dot4_i32_iu8 v139, v104, v94, v139 neg_lo:[1,1,0]
	v_dot4_i32_iu8 v140, v104, v95, v140 neg_lo:[1,1,0]
	v_dot4_i32_iu8 v141, v104, v96, v141 neg_lo:[1,1,0]
	;; [unrolled: 33-line block ×4, first 2 shown]
	s_wait_dscnt 0xb
	v_dot4_i32_iu8 v191, v128, v0, v20 neg_lo:[1,1,0]
	v_dot4_i32_iu8 v192, v128, v1, v21 neg_lo:[1,1,0]
	v_dot4_i32_iu8 v193, v128, v2, v22 neg_lo:[1,1,0]
	v_dot4_i32_iu8 v194, v128, v3, v23 neg_lo:[1,1,0]
	v_dot4_i32_iu8 v142, v129, v0, v142 neg_lo:[1,1,0]
	v_dot4_i32_iu8 v143, v129, v1, v143 neg_lo:[1,1,0]
	v_dot4_i32_iu8 v144, v129, v2, v144 neg_lo:[1,1,0]
	v_dot4_i32_iu8 v145, v129, v3, v145 neg_lo:[1,1,0]
	v_dot4_i32_iu8 v149, v130, v0, v149 neg_lo:[1,1,0]
	v_dot4_i32_iu8 v150, v130, v1, v150 neg_lo:[1,1,0]
	v_dot4_i32_iu8 v151, v130, v2, v151 neg_lo:[1,1,0]
	v_dot4_i32_iu8 v152, v130, v3, v152 neg_lo:[1,1,0]
	v_dot4_i32_iu8 v153, v131, v0, v153 neg_lo:[1,1,0]
	v_dot4_i32_iu8 v154, v131, v1, v154 neg_lo:[1,1,0]
	v_dot4_i32_iu8 v155, v131, v2, v155 neg_lo:[1,1,0]
	v_dot4_i32_iu8 v156, v131, v3, v156 neg_lo:[1,1,0]
	s_wait_dscnt 0xa
	v_dot4_i32_iu8 v106, v128, v4, v106 neg_lo:[1,1,0]
	v_dot4_i32_iu8 v157, v128, v5, v157 neg_lo:[1,1,0]
	v_dot4_i32_iu8 v158, v128, v6, v158 neg_lo:[1,1,0]
	v_dot4_i32_iu8 v195, v128, v7, v32 neg_lo:[1,1,0]
	v_dot4_i32_iu8 v159, v129, v4, v159 neg_lo:[1,1,0]
	v_dot4_i32_iu8 v160, v129, v5, v160 neg_lo:[1,1,0]
	v_dot4_i32_iu8 v161, v129, v6, v161 neg_lo:[1,1,0]
	v_dot4_i32_iu8 v196, v129, v7, v33 neg_lo:[1,1,0]
	v_dot4_i32_iu8 v162, v130, v4, v162 neg_lo:[1,1,0]
	v_dot4_i32_iu8 v163, v130, v5, v163 neg_lo:[1,1,0]
	v_dot4_i32_iu8 v164, v130, v6, v164 neg_lo:[1,1,0]
	v_dot4_i32_iu8 v197, v130, v7, v34 neg_lo:[1,1,0]
	v_dot4_i32_iu8 v165, v131, v4, v165 neg_lo:[1,1,0]
	v_dot4_i32_iu8 v166, v131, v5, v166 neg_lo:[1,1,0]
	v_dot4_i32_iu8 v167, v131, v6, v167 neg_lo:[1,1,0]
	v_dot4_i32_iu8 v198, v131, v7, v35 neg_lo:[1,1,0]
	;; [unrolled: 17-line block ×3, first 2 shown]
	v_dot4_i32_iu8 v177, v8, v4, v177 neg_lo:[1,1,0]
	v_dot4_i32_iu8 v178, v8, v5, v178 neg_lo:[1,1,0]
	v_dot4_i32_iu8 v179, v8, v6, v179 neg_lo:[1,1,0]
	v_dot4_i32_iu8 v8, v8, v7, v180 neg_lo:[1,1,0]
	v_dot4_i32_iu8 v180, v9, v4, v181 neg_lo:[1,1,0]
	v_dot4_i32_iu8 v181, v9, v5, v182 neg_lo:[1,1,0]
	v_dot4_i32_iu8 v182, v9, v6, v183 neg_lo:[1,1,0]
	v_dot4_i32_iu8 v9, v9, v7, v184 neg_lo:[1,1,0]
	v_dot4_i32_iu8 v183, v10, v4, v185 neg_lo:[1,1,0]
	v_dot4_i32_iu8 v184, v10, v5, v187 neg_lo:[1,1,0]
	v_dot4_i32_iu8 v185, v10, v6, v188 neg_lo:[1,1,0]
	v_dot4_i32_iu8 v10, v10, v7, v186 neg_lo:[1,1,0]
	v_dot4_i32_iu8 v186, v11, v4, v189 neg_lo:[1,1,0]
	v_dot4_i32_iu8 v187, v11, v5, v190 neg_lo:[1,1,0]
	v_dot4_i32_iu8 v140, v11, v6, v140 neg_lo:[1,1,0]
	v_dot4_i32_iu8 v11, v11, v7, v141 neg_lo:[1,1,0]
	s_wait_dscnt 0x7
	v_dot4_i32_iu8 v141, v12, v132, v191 neg_lo:[1,1,0]
	v_dot4_i32_iu8 v188, v12, v133, v192 neg_lo:[1,1,0]
	v_dot4_i32_iu8 v189, v12, v134, v193 neg_lo:[1,1,0]
	v_dot4_i32_iu8 v190, v12, v135, v194 neg_lo:[1,1,0]
	v_dot4_i32_iu8 v142, v13, v132, v142 neg_lo:[1,1,0]
	v_dot4_i32_iu8 v143, v13, v133, v143 neg_lo:[1,1,0]
	v_dot4_i32_iu8 v144, v13, v134, v144 neg_lo:[1,1,0]
	v_dot4_i32_iu8 v145, v13, v135, v145 neg_lo:[1,1,0]
	v_dot4_i32_iu8 v149, v14, v132, v149 neg_lo:[1,1,0]
	v_dot4_i32_iu8 v150, v14, v133, v150 neg_lo:[1,1,0]
	v_dot4_i32_iu8 v151, v14, v134, v151 neg_lo:[1,1,0]
	v_dot4_i32_iu8 v152, v14, v135, v152 neg_lo:[1,1,0]
	v_dot4_i32_iu8 v153, v15, v132, v153 neg_lo:[1,1,0]
	v_dot4_i32_iu8 v154, v15, v133, v154 neg_lo:[1,1,0]
	v_dot4_i32_iu8 v155, v15, v134, v155 neg_lo:[1,1,0]
	v_dot4_i32_iu8 v156, v15, v135, v156 neg_lo:[1,1,0]
	s_wait_dscnt 0x6
	;; [unrolled: 17-line block ×3, first 2 shown]
	v_dot4_i32_iu8 v168, v28, v132, v168 neg_lo:[1,1,0]
	v_dot4_i32_iu8 v169, v28, v133, v169 neg_lo:[1,1,0]
	;; [unrolled: 1-line block ×32, first 2 shown]
	ds_load_b128 v[97:100], v38 offset:28672
	ds_load_b128 v[89:92], v38 offset:28928
	ds_load_b128 v[93:96], v38 offset:29184
	ds_load_b128 v[101:104], v38 offset:29440
	ds_load_b128 v[120:123], v38 offset:29696
	ds_load_b128 v[112:115], v38 offset:29952
	ds_load_b128 v[116:119], v38 offset:30208
	ds_load_b128 v[124:127], v38 offset:30464
	ds_load_b128 v[128:131], v38 offset:30720
	ds_load_b128 v[136:139], v38 offset:30976
	ds_load_b128 v[32:35], v38 offset:31232
	ds_load_b128 v[20:23], v38 offset:31488
	ds_load_b128 v[0:3], v38 offset:31744
	ds_load_b128 v[4:7], v38 offset:32000
	ds_load_b128 v[132:135], v37 offset:15360
	ds_load_b128 v[24:27], v37 offset:15616
	s_wait_dscnt 0x13
	v_dot4_i32_iu8 v141, v69, v81, v141 neg_lo:[1,1,0]
	v_dot4_i32_iu8 v188, v69, v82, v188 neg_lo:[1,1,0]
	;; [unrolled: 1-line block ×16, first 2 shown]
	s_wait_dscnt 0x12
	v_dot4_i32_iu8 v106, v69, v73, v106 neg_lo:[1,1,0]
	v_dot4_i32_iu8 v157, v69, v74, v157 neg_lo:[1,1,0]
	;; [unrolled: 1-line block ×16, first 2 shown]
	ds_load_b128 v[8:11], v38 offset:32256
	ds_load_b128 v[12:15], v38 offset:32512
	s_wait_dscnt 0x13
	v_dot4_i32_iu8 v168, v77, v81, v168 neg_lo:[1,1,0]
	v_dot4_i32_iu8 v169, v77, v82, v169 neg_lo:[1,1,0]
	;; [unrolled: 1-line block ×26, first 2 shown]
	ds_load_b128 v[69:72], v37 offset:15872
	ds_load_b128 v[28:31], v37 offset:16128
	ds_store_2addr_stride64_b32 v46, v68, v67 offset0:64 offset1:66
	ds_store_2addr_stride64_b32 v46, v66, v65 offset0:68 offset1:70
	ds_load_b128 v[65:68], v37 offset:12544
	v_dot4_i32_iu8 v183, v79, v73, v183 neg_lo:[1,1,0]
	v_dot4_i32_iu8 v184, v79, v74, v184 neg_lo:[1,1,0]
	;; [unrolled: 1-line block ×6, first 2 shown]
	ds_load_b128 v[73:76], v37 offset:12800
	ds_load_b128 v[77:80], v37 offset:13056
	s_wait_dscnt 0x18
	v_dot4_i32_iu8 v141, v85, v97, v141 neg_lo:[1,1,0]
	v_dot4_i32_iu8 v188, v85, v98, v188 neg_lo:[1,1,0]
	v_dot4_i32_iu8 v189, v85, v99, v189 neg_lo:[1,1,0]
	v_dot4_i32_iu8 v190, v85, v100, v190 neg_lo:[1,1,0]
	v_dot4_i32_iu8 v142, v86, v97, v142 neg_lo:[1,1,0]
	v_dot4_i32_iu8 v143, v86, v98, v143 neg_lo:[1,1,0]
	v_dot4_i32_iu8 v144, v86, v99, v144 neg_lo:[1,1,0]
	v_dot4_i32_iu8 v145, v86, v100, v145 neg_lo:[1,1,0]
	v_dot4_i32_iu8 v149, v87, v97, v149 neg_lo:[1,1,0]
	v_dot4_i32_iu8 v150, v87, v98, v150 neg_lo:[1,1,0]
	v_dot4_i32_iu8 v151, v87, v99, v151 neg_lo:[1,1,0]
	v_dot4_i32_iu8 v152, v87, v100, v152 neg_lo:[1,1,0]
	v_dot4_i32_iu8 v153, v88, v97, v153 neg_lo:[1,1,0]
	v_dot4_i32_iu8 v154, v88, v98, v154 neg_lo:[1,1,0]
	v_dot4_i32_iu8 v155, v88, v99, v155 neg_lo:[1,1,0]
	v_dot4_i32_iu8 v156, v88, v100, v156 neg_lo:[1,1,0]
	s_wait_dscnt 0x17
	v_dot4_i32_iu8 v106, v85, v89, v106 neg_lo:[1,1,0]
	v_dot4_i32_iu8 v157, v85, v90, v157 neg_lo:[1,1,0]
	v_dot4_i32_iu8 v158, v85, v91, v158 neg_lo:[1,1,0]
	v_dot4_i32_iu8 v85, v85, v92, v193 neg_lo:[1,1,0]
	v_dot4_i32_iu8 v159, v86, v89, v159 neg_lo:[1,1,0]
	v_dot4_i32_iu8 v160, v86, v90, v160 neg_lo:[1,1,0]
	v_dot4_i32_iu8 v161, v86, v91, v161 neg_lo:[1,1,0]
	v_dot4_i32_iu8 v86, v86, v92, v194 neg_lo:[1,1,0]
	v_dot4_i32_iu8 v162, v87, v89, v162 neg_lo:[1,1,0]
	v_dot4_i32_iu8 v163, v87, v90, v163 neg_lo:[1,1,0]
	v_dot4_i32_iu8 v164, v87, v91, v164 neg_lo:[1,1,0]
	v_dot4_i32_iu8 v87, v87, v92, v195 neg_lo:[1,1,0]
	v_dot4_i32_iu8 v165, v88, v89, v165 neg_lo:[1,1,0]
	v_dot4_i32_iu8 v166, v88, v90, v166 neg_lo:[1,1,0]
	v_dot4_i32_iu8 v167, v88, v91, v167 neg_lo:[1,1,0]
	v_dot4_i32_iu8 v88, v88, v92, v196 neg_lo:[1,1,0]
	;; [unrolled: 17-line block ×3, first 2 shown]
	v_dot4_i32_iu8 v175, v65, v89, v175 neg_lo:[1,1,0]
	v_dot4_i32_iu8 v176, v65, v90, v176 neg_lo:[1,1,0]
	;; [unrolled: 1-line block ×16, first 2 shown]
	ds_load_b128 v[65:68], v37 offset:13312
	ds_load_b128 v[81:84], v37 offset:13568
	s_wait_dscnt 0x3
	v_dot4_i32_iu8 v140, v73, v93, v141 neg_lo:[1,1,0]
	v_dot4_i32_iu8 v141, v73, v94, v188 neg_lo:[1,1,0]
	;; [unrolled: 1-line block ×32, first 2 shown]
	ds_load_b128 v[73:76], v37 offset:13824
	ds_load_b128 v[85:88], v37 offset:14080
	s_wait_dscnt 0x4
	v_dot4_i32_iu8 v168, v77, v93, v168 neg_lo:[1,1,0]
	v_dot4_i32_iu8 v169, v77, v94, v169 neg_lo:[1,1,0]
	;; [unrolled: 1-line block ×32, first 2 shown]
	ds_load_b128 v[77:80], v37 offset:14336
	ds_load_b128 v[89:92], v37 offset:14592
	s_and_b32 s5, s68, s5
	ds_store_2addr_stride64_b32 v46, v64, v63 offset0:72 offset1:74
	ds_store_2addr_stride64_b32 v46, v62, v61 offset0:76 offset1:78
	s_wait_alu 0xfffe
	s_and_b32 s5, s2, s5
	ds_load_b128 v[61:64], v37 offset:15104
	s_wait_loadcnt 0x0
	s_wait_alu 0xfffe
	v_cndmask_b32_e64 v183, 0, v19, s5
	v_cndmask_b32_e64 v184, 0, v18, s5
	;; [unrolled: 1-line block ×4, first 2 shown]
	ds_load_b128 v[16:19], v37 offset:14848
	s_wait_dscnt 0x9
	v_dot4_i32_iu8 v140, v65, v120, v140 neg_lo:[1,1,0]
	v_dot4_i32_iu8 v141, v65, v121, v141 neg_lo:[1,1,0]
	v_dot4_i32_iu8 v186, v65, v122, v186 neg_lo:[1,1,0]
	v_dot4_i32_iu8 v187, v65, v123, v187 neg_lo:[1,1,0]
	v_dot4_i32_iu8 v142, v66, v120, v142 neg_lo:[1,1,0]
	v_dot4_i32_iu8 v143, v66, v121, v143 neg_lo:[1,1,0]
	v_dot4_i32_iu8 v144, v66, v122, v144 neg_lo:[1,1,0]
	v_dot4_i32_iu8 v145, v66, v123, v145 neg_lo:[1,1,0]
	v_dot4_i32_iu8 v149, v67, v120, v149 neg_lo:[1,1,0]
	v_dot4_i32_iu8 v150, v67, v121, v150 neg_lo:[1,1,0]
	v_dot4_i32_iu8 v151, v67, v122, v151 neg_lo:[1,1,0]
	v_dot4_i32_iu8 v152, v67, v123, v152 neg_lo:[1,1,0]
	v_dot4_i32_iu8 v153, v68, v120, v153 neg_lo:[1,1,0]
	v_dot4_i32_iu8 v154, v68, v121, v154 neg_lo:[1,1,0]
	v_dot4_i32_iu8 v155, v68, v122, v155 neg_lo:[1,1,0]
	v_dot4_i32_iu8 v156, v68, v123, v156 neg_lo:[1,1,0]
	v_dot4_i32_iu8 v106, v65, v112, v106 neg_lo:[1,1,0]
	v_dot4_i32_iu8 v157, v65, v113, v157 neg_lo:[1,1,0]
	v_dot4_i32_iu8 v158, v65, v114, v158 neg_lo:[1,1,0]
	v_dot4_i32_iu8 v65, v65, v115, v188 neg_lo:[1,1,0]
	v_dot4_i32_iu8 v159, v66, v112, v159 neg_lo:[1,1,0]
	v_dot4_i32_iu8 v160, v66, v113, v160 neg_lo:[1,1,0]
	v_dot4_i32_iu8 v161, v66, v114, v161 neg_lo:[1,1,0]
	v_dot4_i32_iu8 v66, v66, v115, v189 neg_lo:[1,1,0]
	v_dot4_i32_iu8 v162, v67, v112, v162 neg_lo:[1,1,0]
	v_dot4_i32_iu8 v163, v67, v113, v163 neg_lo:[1,1,0]
	v_dot4_i32_iu8 v164, v67, v114, v164 neg_lo:[1,1,0]
	v_dot4_i32_iu8 v67, v67, v115, v190 neg_lo:[1,1,0]
	v_dot4_i32_iu8 v165, v68, v112, v165 neg_lo:[1,1,0]
	v_dot4_i32_iu8 v166, v68, v113, v166 neg_lo:[1,1,0]
	v_dot4_i32_iu8 v167, v68, v114, v167 neg_lo:[1,1,0]
	v_dot4_i32_iu8 v68, v68, v115, v192 neg_lo:[1,1,0]
	s_wait_dscnt 0x8
	v_dot4_i32_iu8 v168, v81, v120, v168 neg_lo:[1,1,0]
	v_dot4_i32_iu8 v169, v81, v121, v169 neg_lo:[1,1,0]
	v_dot4_i32_iu8 v105, v81, v122, v105 neg_lo:[1,1,0]
	v_dot4_i32_iu8 v107, v81, v123, v107 neg_lo:[1,1,0]
	v_dot4_i32_iu8 v170, v82, v120, v170 neg_lo:[1,1,0]
	v_dot4_i32_iu8 v171, v82, v121, v171 neg_lo:[1,1,0]
	v_dot4_i32_iu8 v172, v82, v122, v172 neg_lo:[1,1,0]
	v_dot4_i32_iu8 v173, v82, v123, v173 neg_lo:[1,1,0]
	v_dot4_i32_iu8 v174, v83, v120, v174 neg_lo:[1,1,0]
	v_dot4_i32_iu8 v146, v83, v121, v146 neg_lo:[1,1,0]
	v_dot4_i32_iu8 v147, v83, v122, v147 neg_lo:[1,1,0]
	v_dot4_i32_iu8 v148, v83, v123, v148 neg_lo:[1,1,0]
	v_dot4_i32_iu8 v93, v84, v120, v93 neg_lo:[1,1,0]
	v_dot4_i32_iu8 v94, v84, v121, v94 neg_lo:[1,1,0]
	v_dot4_i32_iu8 v95, v84, v122, v95 neg_lo:[1,1,0]
	v_dot4_i32_iu8 v96, v84, v123, v96 neg_lo:[1,1,0]
	v_dot4_i32_iu8 v97, v81, v112, v97 neg_lo:[1,1,0]
	v_dot4_i32_iu8 v98, v81, v113, v98 neg_lo:[1,1,0]
	v_dot4_i32_iu8 v99, v81, v114, v99 neg_lo:[1,1,0]
	v_dot4_i32_iu8 v81, v81, v115, v100 neg_lo:[1,1,0]
	v_dot4_i32_iu8 v100, v82, v112, v175 neg_lo:[1,1,0]
	v_dot4_i32_iu8 v120, v82, v113, v176 neg_lo:[1,1,0]
	v_dot4_i32_iu8 v121, v82, v114, v177 neg_lo:[1,1,0]
	v_dot4_i32_iu8 v82, v82, v115, v178 neg_lo:[1,1,0]
	v_dot4_i32_iu8 v122, v83, v112, v179 neg_lo:[1,1,0]
	v_dot4_i32_iu8 v123, v83, v113, v180 neg_lo:[1,1,0]
	v_dot4_i32_iu8 v175, v83, v114, v181 neg_lo:[1,1,0]
	v_dot4_i32_iu8 v83, v83, v115, v182 neg_lo:[1,1,0]
	v_dot4_i32_iu8 v101, v84, v112, v101 neg_lo:[1,1,0]
	v_dot4_i32_iu8 v102, v84, v113, v102 neg_lo:[1,1,0]
	v_dot4_i32_iu8 v103, v84, v114, v103 neg_lo:[1,1,0]
	v_dot4_i32_iu8 v84, v84, v115, v104 neg_lo:[1,1,0]
	;; [unrolled: 33-line block ×7, first 2 shown]
	v_dot4_i32_iu8 v68, v61, v32, v76 neg_lo:[1,1,0]
	v_dot4_i32_iu8 v76, v61, v33, v80 neg_lo:[1,1,0]
	;; [unrolled: 1-line block ×96, first 2 shown]
	v_add_nc_u32_e32 v47, s48, v47
	v_add_nc_u32_e32 v48, s48, v48
	;; [unrolled: 1-line block ×8, first 2 shown]
	v_dot4_i32_iu8 v107, v69, v8, v64 neg_lo:[1,1,0]
	v_dot4_i32_iu8 v106, v69, v9, v83 neg_lo:[1,1,0]
	;; [unrolled: 1-line block ×64, first 2 shown]
	s_add_co_i32 s63, s63, 32
	s_add_co_i32 s61, s61, s50
	s_wait_alu 0xfffe
	s_cmp_lt_i32 s63, s46
	ds_store_2addr_stride64_b32 v46, v111, v110 offset1:2
	ds_store_2addr_stride64_b32 v46, v109, v108 offset0:4 offset1:6
	ds_store_2addr_stride64_b32 v46, v191, v185 offset0:8 offset1:10
	;; [unrolled: 1-line block ×3, first 2 shown]
	s_cbranch_scc1 .LBB6_1
; %bb.2:
	s_wait_dscnt 0x0
	s_barrier_signal -1
	s_barrier_wait -1
	global_inv scope:SCOPE_SE
	ds_load_b128 v[0:3], v37
	ds_load_b128 v[4:7], v38 offset:16384
	ds_load_b128 v[8:11], v38 offset:16640
	;; [unrolled: 1-line block ×4, first 2 shown]
	s_load_b64 s[0:1], s[0:1], 0x10
	s_mul_u64 s[2:3], s[18:19], s[20:21]
	s_mul_u64 s[4:5], s[16:17], s[20:21]
	s_wait_alu 0xfffe
	s_add_nc_u64 s[20:21], s[24:25], s[2:3]
	s_mov_b32 s27, 0x31004000
	s_lshl_b32 s2, s53, 7
	s_lshl_b32 s3, s35, 6
	s_and_b32 s21, s21, 0xffff
	s_wait_alu 0xfffe
	s_mov_b32 s23, s27
	s_wait_dscnt 0x2
	v_dot4_i32_iu8 v57, v0, v8, v99 neg_lo:[1,1,0]
	v_dot4_i32_iu8 v16, v0, v4, v107 neg_lo:[1,1,0]
	;; [unrolled: 1-line block ×32, first 2 shown]
	ds_load_b128 v[0:3], v37 offset:512
	s_wait_dscnt 0x2
	v_dot4_i32_iu8 v70, v12, v4, v70 neg_lo:[1,1,0]
	v_dot4_i32_iu8 v69, v12, v5, v69 neg_lo:[1,1,0]
	;; [unrolled: 1-line block ×30, first 2 shown]
	ds_load_b128 v[4:7], v38 offset:17152
	v_dot4_i32_iu8 v29, v15, v10, v29 neg_lo:[1,1,0]
	v_dot4_i32_iu8 v30, v15, v11, v30 neg_lo:[1,1,0]
	ds_load_b128 v[8:11], v37 offset:768
	s_wait_dscnt 0x2
	v_dot4_i32_iu8 v88, v0, v41, v16 neg_lo:[1,1,0]
	v_dot4_i32_iu8 v89, v0, v42, v17 neg_lo:[1,1,0]
	;; [unrolled: 1-line block ×16, first 2 shown]
	s_wait_dscnt 0x1
	v_dot4_i32_iu8 v57, v0, v4, v57 neg_lo:[1,1,0]
	v_dot4_i32_iu8 v58, v0, v5, v58 neg_lo:[1,1,0]
	;; [unrolled: 1-line block ×16, first 2 shown]
	ds_load_b128 v[0:3], v37 offset:1024
	s_wait_dscnt 0x1
	v_dot4_i32_iu8 v70, v8, v41, v70 neg_lo:[1,1,0]
	v_dot4_i32_iu8 v69, v8, v42, v69 neg_lo:[1,1,0]
	;; [unrolled: 1-line block ×15, first 2 shown]
	ds_load_b128 v[12:15], v38 offset:17408
	v_dot4_i32_iu8 v43, v11, v44, v79 neg_lo:[1,1,0]
	v_dot4_i32_iu8 v44, v8, v4, v62 neg_lo:[1,1,0]
	v_dot4_i32_iu8 v35, v8, v5, v35 neg_lo:[1,1,0]
	v_dot4_i32_iu8 v33, v8, v6, v33 neg_lo:[1,1,0]
	v_dot4_i32_iu8 v28, v8, v7, v28 neg_lo:[1,1,0]
	v_dot4_i32_iu8 v26, v9, v4, v26 neg_lo:[1,1,0]
	v_dot4_i32_iu8 v24, v9, v5, v24 neg_lo:[1,1,0]
	v_dot4_i32_iu8 v23, v9, v6, v23 neg_lo:[1,1,0]
	v_dot4_i32_iu8 v22, v9, v7, v22 neg_lo:[1,1,0]
	v_dot4_i32_iu8 v21, v10, v4, v21 neg_lo:[1,1,0]
	v_dot4_i32_iu8 v20, v10, v5, v20 neg_lo:[1,1,0]
	v_dot4_i32_iu8 v62, v10, v6, v19 neg_lo:[1,1,0]
	v_dot4_i32_iu8 v79, v10, v7, v18 neg_lo:[1,1,0]
	v_dot4_i32_iu8 v72, v11, v4, v72 neg_lo:[1,1,0]
	v_dot4_i32_iu8 v73, v11, v5, v73 neg_lo:[1,1,0]
	ds_load_b128 v[16:19], v38 offset:17664
	v_dot4_i32_iu8 v29, v11, v6, v29 neg_lo:[1,1,0]
	v_dot4_i32_iu8 v30, v11, v7, v30 neg_lo:[1,1,0]
	ds_load_b128 v[4:7], v37 offset:1280
	s_wait_dscnt 0x2
	v_dot4_i32_iu8 v81, v0, v12, v88 neg_lo:[1,1,0]
	v_dot4_i32_iu8 v82, v0, v13, v89 neg_lo:[1,1,0]
	;; [unrolled: 1-line block ×16, first 2 shown]
	s_wait_dscnt 0x1
	v_dot4_i32_iu8 v57, v0, v16, v57 neg_lo:[1,1,0]
	v_dot4_i32_iu8 v58, v0, v17, v58 neg_lo:[1,1,0]
	v_dot4_i32_iu8 v59, v0, v18, v59 neg_lo:[1,1,0]
	v_dot4_i32_iu8 v60, v0, v19, v60 neg_lo:[1,1,0]
	v_dot4_i32_iu8 v84, v1, v16, v84 neg_lo:[1,1,0]
	v_dot4_i32_iu8 v85, v1, v17, v85 neg_lo:[1,1,0]
	v_dot4_i32_iu8 v86, v1, v18, v86 neg_lo:[1,1,0]
	v_dot4_i32_iu8 v87, v1, v19, v87 neg_lo:[1,1,0]
	v_dot4_i32_iu8 v83, v2, v16, v83 neg_lo:[1,1,0]
	v_dot4_i32_iu8 v80, v2, v17, v80 neg_lo:[1,1,0]
	v_dot4_i32_iu8 v78, v2, v18, v78 neg_lo:[1,1,0]
	v_dot4_i32_iu8 v77, v2, v19, v77 neg_lo:[1,1,0]
	v_dot4_i32_iu8 v76, v3, v16, v76 neg_lo:[1,1,0]
	v_dot4_i32_iu8 v75, v3, v17, v75 neg_lo:[1,1,0]
	v_dot4_i32_iu8 v74, v3, v18, v74 neg_lo:[1,1,0]
	v_dot4_i32_iu8 v71, v3, v19, v71 neg_lo:[1,1,0]
	ds_load_b128 v[0:3], v37 offset:1536
	s_wait_dscnt 0x1
	v_dot4_i32_iu8 v70, v4, v12, v70 neg_lo:[1,1,0]
	v_dot4_i32_iu8 v69, v4, v13, v69 neg_lo:[1,1,0]
	;; [unrolled: 1-line block ×15, first 2 shown]
	ds_load_b128 v[8:11], v38 offset:17920
	v_dot4_i32_iu8 v43, v7, v15, v43 neg_lo:[1,1,0]
	v_dot4_i32_iu8 v44, v4, v16, v44 neg_lo:[1,1,0]
	;; [unrolled: 1-line block ×15, first 2 shown]
	ds_load_b128 v[12:15], v38 offset:18176
	v_dot4_i32_iu8 v29, v7, v18, v29 neg_lo:[1,1,0]
	v_dot4_i32_iu8 v30, v7, v19, v30 neg_lo:[1,1,0]
	ds_load_b128 v[4:7], v37 offset:1792
	s_wait_dscnt 0x2
	v_dot4_i32_iu8 v81, v0, v8, v81 neg_lo:[1,1,0]
	v_dot4_i32_iu8 v82, v0, v9, v82 neg_lo:[1,1,0]
	;; [unrolled: 1-line block ×16, first 2 shown]
	s_wait_dscnt 0x1
	v_dot4_i32_iu8 v57, v0, v12, v57 neg_lo:[1,1,0]
	v_dot4_i32_iu8 v58, v0, v13, v58 neg_lo:[1,1,0]
	;; [unrolled: 1-line block ×16, first 2 shown]
	ds_load_b128 v[0:3], v37 offset:2048
	s_wait_dscnt 0x1
	v_dot4_i32_iu8 v70, v4, v8, v70 neg_lo:[1,1,0]
	v_dot4_i32_iu8 v69, v4, v9, v69 neg_lo:[1,1,0]
	;; [unrolled: 1-line block ×15, first 2 shown]
	ds_load_b128 v[16:19], v38 offset:18432
	v_dot4_i32_iu8 v43, v7, v11, v43 neg_lo:[1,1,0]
	v_dot4_i32_iu8 v44, v4, v12, v44 neg_lo:[1,1,0]
	;; [unrolled: 1-line block ×15, first 2 shown]
	ds_load_b128 v[8:11], v38 offset:18688
	v_dot4_i32_iu8 v29, v7, v14, v29 neg_lo:[1,1,0]
	v_dot4_i32_iu8 v30, v7, v15, v30 neg_lo:[1,1,0]
	ds_load_b128 v[4:7], v37 offset:2304
	s_wait_dscnt 0x2
	v_dot4_i32_iu8 v81, v0, v16, v81 neg_lo:[1,1,0]
	v_dot4_i32_iu8 v82, v0, v17, v82 neg_lo:[1,1,0]
	;; [unrolled: 1-line block ×16, first 2 shown]
	s_wait_dscnt 0x1
	v_dot4_i32_iu8 v57, v0, v8, v57 neg_lo:[1,1,0]
	v_dot4_i32_iu8 v58, v0, v9, v58 neg_lo:[1,1,0]
	;; [unrolled: 1-line block ×16, first 2 shown]
	ds_load_b128 v[0:3], v37 offset:2560
	s_wait_dscnt 0x1
	v_dot4_i32_iu8 v70, v4, v16, v70 neg_lo:[1,1,0]
	v_dot4_i32_iu8 v69, v4, v17, v69 neg_lo:[1,1,0]
	;; [unrolled: 1-line block ×15, first 2 shown]
	ds_load_b128 v[12:15], v38 offset:18944
	v_dot4_i32_iu8 v43, v7, v19, v43 neg_lo:[1,1,0]
	v_dot4_i32_iu8 v44, v4, v8, v44 neg_lo:[1,1,0]
	;; [unrolled: 1-line block ×15, first 2 shown]
	ds_load_b128 v[16:19], v38 offset:19200
	v_dot4_i32_iu8 v29, v7, v10, v29 neg_lo:[1,1,0]
	v_dot4_i32_iu8 v30, v7, v11, v30 neg_lo:[1,1,0]
	ds_load_b128 v[4:7], v37 offset:2816
	s_wait_dscnt 0x2
	v_dot4_i32_iu8 v81, v0, v12, v81 neg_lo:[1,1,0]
	v_dot4_i32_iu8 v82, v0, v13, v82 neg_lo:[1,1,0]
	;; [unrolled: 1-line block ×16, first 2 shown]
	s_wait_dscnt 0x1
	v_dot4_i32_iu8 v57, v0, v16, v57 neg_lo:[1,1,0]
	v_dot4_i32_iu8 v58, v0, v17, v58 neg_lo:[1,1,0]
	;; [unrolled: 1-line block ×16, first 2 shown]
	ds_load_b128 v[0:3], v37 offset:3072
	s_wait_dscnt 0x1
	v_dot4_i32_iu8 v70, v4, v12, v70 neg_lo:[1,1,0]
	v_dot4_i32_iu8 v69, v4, v13, v69 neg_lo:[1,1,0]
	;; [unrolled: 1-line block ×15, first 2 shown]
	ds_load_b128 v[8:11], v38 offset:19456
	v_dot4_i32_iu8 v43, v7, v15, v43 neg_lo:[1,1,0]
	v_dot4_i32_iu8 v44, v4, v16, v44 neg_lo:[1,1,0]
	;; [unrolled: 1-line block ×15, first 2 shown]
	ds_load_b128 v[12:15], v38 offset:19712
	v_dot4_i32_iu8 v29, v7, v18, v29 neg_lo:[1,1,0]
	v_dot4_i32_iu8 v30, v7, v19, v30 neg_lo:[1,1,0]
	ds_load_b128 v[4:7], v37 offset:3328
	s_wait_dscnt 0x2
	v_dot4_i32_iu8 v81, v0, v8, v81 neg_lo:[1,1,0]
	v_dot4_i32_iu8 v82, v0, v9, v82 neg_lo:[1,1,0]
	;; [unrolled: 1-line block ×16, first 2 shown]
	s_wait_dscnt 0x1
	v_dot4_i32_iu8 v57, v0, v12, v57 neg_lo:[1,1,0]
	v_dot4_i32_iu8 v58, v0, v13, v58 neg_lo:[1,1,0]
	;; [unrolled: 1-line block ×16, first 2 shown]
	ds_load_b128 v[0:3], v37 offset:3584
	s_wait_dscnt 0x1
	v_dot4_i32_iu8 v70, v4, v8, v70 neg_lo:[1,1,0]
	v_dot4_i32_iu8 v69, v4, v9, v69 neg_lo:[1,1,0]
	;; [unrolled: 1-line block ×15, first 2 shown]
	ds_load_b128 v[16:19], v38 offset:19968
	v_dot4_i32_iu8 v43, v7, v11, v43 neg_lo:[1,1,0]
	v_dot4_i32_iu8 v44, v4, v12, v44 neg_lo:[1,1,0]
	;; [unrolled: 1-line block ×15, first 2 shown]
	ds_load_b128 v[8:11], v38 offset:20224
	v_dot4_i32_iu8 v29, v7, v14, v29 neg_lo:[1,1,0]
	v_dot4_i32_iu8 v30, v7, v15, v30 neg_lo:[1,1,0]
	ds_load_b128 v[4:7], v37 offset:3840
	s_wait_dscnt 0x2
	v_dot4_i32_iu8 v81, v0, v16, v81 neg_lo:[1,1,0]
	v_dot4_i32_iu8 v82, v0, v17, v82 neg_lo:[1,1,0]
	;; [unrolled: 1-line block ×16, first 2 shown]
	s_wait_dscnt 0x1
	v_dot4_i32_iu8 v57, v0, v8, v57 neg_lo:[1,1,0]
	v_dot4_i32_iu8 v58, v0, v9, v58 neg_lo:[1,1,0]
	;; [unrolled: 1-line block ×16, first 2 shown]
	ds_load_b128 v[0:3], v37 offset:4096
	s_wait_dscnt 0x1
	v_dot4_i32_iu8 v70, v4, v16, v70 neg_lo:[1,1,0]
	v_dot4_i32_iu8 v69, v4, v17, v69 neg_lo:[1,1,0]
	;; [unrolled: 1-line block ×15, first 2 shown]
	ds_load_b128 v[12:15], v38 offset:20480
	v_dot4_i32_iu8 v43, v7, v19, v43 neg_lo:[1,1,0]
	v_dot4_i32_iu8 v44, v4, v8, v44 neg_lo:[1,1,0]
	;; [unrolled: 1-line block ×15, first 2 shown]
	ds_load_b128 v[16:19], v38 offset:20736
	v_dot4_i32_iu8 v29, v7, v10, v29 neg_lo:[1,1,0]
	v_dot4_i32_iu8 v30, v7, v11, v30 neg_lo:[1,1,0]
	ds_load_b128 v[4:7], v37 offset:4352
	s_wait_dscnt 0x2
	v_dot4_i32_iu8 v81, v0, v12, v81 neg_lo:[1,1,0]
	v_dot4_i32_iu8 v82, v0, v13, v82 neg_lo:[1,1,0]
	;; [unrolled: 1-line block ×16, first 2 shown]
	s_wait_dscnt 0x1
	v_dot4_i32_iu8 v57, v0, v16, v57 neg_lo:[1,1,0]
	v_dot4_i32_iu8 v58, v0, v17, v58 neg_lo:[1,1,0]
	v_dot4_i32_iu8 v59, v0, v18, v59 neg_lo:[1,1,0]
	v_dot4_i32_iu8 v60, v0, v19, v60 neg_lo:[1,1,0]
	v_dot4_i32_iu8 v84, v1, v16, v84 neg_lo:[1,1,0]
	v_dot4_i32_iu8 v85, v1, v17, v85 neg_lo:[1,1,0]
	v_dot4_i32_iu8 v86, v1, v18, v86 neg_lo:[1,1,0]
	v_dot4_i32_iu8 v87, v1, v19, v87 neg_lo:[1,1,0]
	v_dot4_i32_iu8 v83, v2, v16, v83 neg_lo:[1,1,0]
	v_dot4_i32_iu8 v80, v2, v17, v80 neg_lo:[1,1,0]
	v_dot4_i32_iu8 v78, v2, v18, v78 neg_lo:[1,1,0]
	v_dot4_i32_iu8 v77, v2, v19, v77 neg_lo:[1,1,0]
	v_dot4_i32_iu8 v76, v3, v16, v76 neg_lo:[1,1,0]
	v_dot4_i32_iu8 v75, v3, v17, v75 neg_lo:[1,1,0]
	v_dot4_i32_iu8 v74, v3, v18, v74 neg_lo:[1,1,0]
	v_dot4_i32_iu8 v71, v3, v19, v71 neg_lo:[1,1,0]
	ds_load_b128 v[0:3], v37 offset:4608
	s_wait_dscnt 0x1
	v_dot4_i32_iu8 v70, v4, v12, v70 neg_lo:[1,1,0]
	v_dot4_i32_iu8 v69, v4, v13, v69 neg_lo:[1,1,0]
	;; [unrolled: 1-line block ×15, first 2 shown]
	ds_load_b128 v[8:11], v38 offset:20992
	v_dot4_i32_iu8 v43, v7, v15, v43 neg_lo:[1,1,0]
	v_dot4_i32_iu8 v44, v4, v16, v44 neg_lo:[1,1,0]
	;; [unrolled: 1-line block ×15, first 2 shown]
	ds_load_b128 v[12:15], v38 offset:21248
	v_dot4_i32_iu8 v29, v7, v18, v29 neg_lo:[1,1,0]
	v_dot4_i32_iu8 v30, v7, v19, v30 neg_lo:[1,1,0]
	ds_load_b128 v[4:7], v37 offset:4864
	s_wait_dscnt 0x2
	v_dot4_i32_iu8 v81, v0, v8, v81 neg_lo:[1,1,0]
	v_dot4_i32_iu8 v82, v0, v9, v82 neg_lo:[1,1,0]
	;; [unrolled: 1-line block ×16, first 2 shown]
	s_wait_dscnt 0x1
	v_dot4_i32_iu8 v57, v0, v12, v57 neg_lo:[1,1,0]
	v_dot4_i32_iu8 v58, v0, v13, v58 neg_lo:[1,1,0]
	;; [unrolled: 1-line block ×16, first 2 shown]
	ds_load_b128 v[0:3], v37 offset:5120
	s_wait_dscnt 0x1
	v_dot4_i32_iu8 v70, v4, v8, v70 neg_lo:[1,1,0]
	v_dot4_i32_iu8 v69, v4, v9, v69 neg_lo:[1,1,0]
	;; [unrolled: 1-line block ×15, first 2 shown]
	ds_load_b128 v[16:19], v38 offset:21504
	v_dot4_i32_iu8 v43, v7, v11, v43 neg_lo:[1,1,0]
	v_dot4_i32_iu8 v44, v4, v12, v44 neg_lo:[1,1,0]
	;; [unrolled: 1-line block ×15, first 2 shown]
	ds_load_b128 v[8:11], v38 offset:21760
	v_dot4_i32_iu8 v29, v7, v14, v29 neg_lo:[1,1,0]
	v_dot4_i32_iu8 v30, v7, v15, v30 neg_lo:[1,1,0]
	ds_load_b128 v[4:7], v37 offset:5376
	ds_load_b128 v[12:15], v38 offset:22016
	s_wait_kmcnt 0x0
	s_add_nc_u64 s[24:25], s[0:1], s[4:5]
	s_lshl_b32 s0, s53, 6
	s_and_b32 s25, s25, 0xffff
	s_add_co_i32 s1, s0, s52
	s_delay_alu instid0(SALU_CYCLE_1)
	s_sub_co_i32 s1, s1, s2
	s_mul_i32 s2, s52, 60
	s_wait_dscnt 0x2
	v_dot4_i32_iu8 v57, v0, v8, v57 neg_lo:[1,1,0]
	v_dot4_i32_iu8 v58, v0, v9, v58 neg_lo:[1,1,0]
	;; [unrolled: 1-line block ×16, first 2 shown]
	s_wait_dscnt 0x1
	v_dot4_i32_iu8 v44, v4, v8, v44 neg_lo:[1,1,0]
	v_dot4_i32_iu8 v35, v4, v9, v35 neg_lo:[1,1,0]
	v_dot4_i32_iu8 v33, v4, v10, v33 neg_lo:[1,1,0]
	v_dot4_i32_iu8 v28, v4, v11, v28 neg_lo:[1,1,0]
	v_dot4_i32_iu8 v26, v5, v8, v26 neg_lo:[1,1,0]
	v_dot4_i32_iu8 v24, v5, v9, v24 neg_lo:[1,1,0]
	v_dot4_i32_iu8 v23, v5, v10, v23 neg_lo:[1,1,0]
	v_dot4_i32_iu8 v22, v5, v11, v22 neg_lo:[1,1,0]
	v_dot4_i32_iu8 v88, v6, v8, v21 neg_lo:[1,1,0]
	v_dot4_i32_iu8 v89, v6, v9, v20 neg_lo:[1,1,0]
	v_dot4_i32_iu8 v62, v6, v10, v62 neg_lo:[1,1,0]
	v_dot4_i32_iu8 v79, v6, v11, v79 neg_lo:[1,1,0]
	v_dot4_i32_iu8 v72, v7, v8, v72 neg_lo:[1,1,0]
	v_dot4_i32_iu8 v73, v7, v9, v73 neg_lo:[1,1,0]
	v_dot4_i32_iu8 v29, v7, v10, v29 neg_lo:[1,1,0]
	v_dot4_i32_iu8 v30, v7, v11, v30 neg_lo:[1,1,0]
	ds_load_b128 v[8:11], v37 offset:6144
	v_dot4_i32_iu8 v81, v0, v16, v81 neg_lo:[1,1,0]
	v_dot4_i32_iu8 v82, v0, v17, v82 neg_lo:[1,1,0]
	v_dot4_i32_iu8 v31, v0, v18, v31 neg_lo:[1,1,0]
	v_dot4_i32_iu8 v36, v0, v19, v36 neg_lo:[1,1,0]
	v_dot4_i32_iu8 v45, v1, v16, v45 neg_lo:[1,1,0]
	v_dot4_i32_iu8 v46, v1, v17, v46 neg_lo:[1,1,0]
	v_dot4_i32_iu8 v47, v1, v18, v47 neg_lo:[1,1,0]
	v_dot4_i32_iu8 v48, v1, v19, v48 neg_lo:[1,1,0]
	v_dot4_i32_iu8 v49, v2, v16, v49 neg_lo:[1,1,0]
	v_dot4_i32_iu8 v50, v2, v17, v50 neg_lo:[1,1,0]
	v_dot4_i32_iu8 v51, v2, v18, v51 neg_lo:[1,1,0]
	v_dot4_i32_iu8 v52, v2, v19, v52 neg_lo:[1,1,0]
	v_dot4_i32_iu8 v53, v3, v16, v53 neg_lo:[1,1,0]
	v_dot4_i32_iu8 v54, v3, v17, v54 neg_lo:[1,1,0]
	v_dot4_i32_iu8 v55, v3, v18, v55 neg_lo:[1,1,0]
	v_dot4_i32_iu8 v56, v3, v19, v56 neg_lo:[1,1,0]
	ds_load_b128 v[0:3], v37 offset:5632
	;; [unrolled: 17-line block ×3, first 2 shown]
	ds_load_b128 v[4:7], v37 offset:5888
	s_wait_dscnt 0x2
	v_dot4_i32_iu8 v81, v0, v12, v81 neg_lo:[1,1,0]
	v_dot4_i32_iu8 v82, v0, v13, v82 neg_lo:[1,1,0]
	v_dot4_i32_iu8 v31, v0, v14, v31 neg_lo:[1,1,0]
	v_dot4_i32_iu8 v36, v0, v15, v36 neg_lo:[1,1,0]
	v_dot4_i32_iu8 v49, v2, v12, v49 neg_lo:[1,1,0]
	v_dot4_i32_iu8 v50, v2, v13, v50 neg_lo:[1,1,0]
	v_dot4_i32_iu8 v51, v2, v14, v51 neg_lo:[1,1,0]
	v_dot4_i32_iu8 v52, v2, v15, v52 neg_lo:[1,1,0]
	v_dot4_i32_iu8 v45, v1, v12, v45 neg_lo:[1,1,0]
	v_dot4_i32_iu8 v46, v1, v13, v46 neg_lo:[1,1,0]
	v_dot4_i32_iu8 v47, v1, v14, v47 neg_lo:[1,1,0]
	v_dot4_i32_iu8 v48, v1, v15, v48 neg_lo:[1,1,0]
	v_dot4_i32_iu8 v53, v3, v12, v53 neg_lo:[1,1,0]
	v_dot4_i32_iu8 v54, v3, v13, v54 neg_lo:[1,1,0]
	v_dot4_i32_iu8 v55, v3, v14, v55 neg_lo:[1,1,0]
	v_dot4_i32_iu8 v56, v3, v15, v56 neg_lo:[1,1,0]
	s_wait_dscnt 0x1
	v_dot4_i32_iu8 v57, v0, v16, v57 neg_lo:[1,1,0]
	v_dot4_i32_iu8 v58, v0, v17, v58 neg_lo:[1,1,0]
	;; [unrolled: 1-line block ×4, first 2 shown]
	v_lshl_or_b32 v0, s47, 7, v40
	v_dot4_i32_iu8 v83, v2, v16, v83 neg_lo:[1,1,0]
	v_dot4_i32_iu8 v80, v2, v17, v80 neg_lo:[1,1,0]
	;; [unrolled: 1-line block ×4, first 2 shown]
	v_mul_lo_u32 v2, v0, s52
	v_dot4_i32_iu8 v84, v1, v16, v84 neg_lo:[1,1,0]
	v_dot4_i32_iu8 v85, v1, v17, v85 neg_lo:[1,1,0]
	;; [unrolled: 1-line block ×4, first 2 shown]
	v_lshl_add_u32 v1, s49, 7, v39
	s_wait_dscnt 0x0
	v_dot4_i32_iu8 v40, v4, v12, v70 neg_lo:[1,1,0]
	v_dot4_i32_iu8 v69, v4, v13, v69 neg_lo:[1,1,0]
	;; [unrolled: 1-line block ×4, first 2 shown]
	v_mad_co_u64_u32 v[20:21], null, v1, s53, v[2:3]
	v_dot4_i32_iu8 v44, v4, v16, v44 neg_lo:[1,1,0]
	v_dot4_i32_iu8 v35, v4, v17, v35 neg_lo:[1,1,0]
	;; [unrolled: 1-line block ×6, first 2 shown]
	buffer_load_b32 v2, v20, s[24:27], null offen
	v_add_nc_u32_e32 v4, s0, v20
	v_dot4_i32_iu8 v74, v3, v18, v74 neg_lo:[1,1,0]
	v_dot4_i32_iu8 v71, v3, v19, v71 neg_lo:[1,1,0]
	;; [unrolled: 1-line block ×4, first 2 shown]
	buffer_load_b32 v3, v4, s[24:27], null offen
	v_dot4_i32_iu8 v64, v5, v14, v64 neg_lo:[1,1,0]
	v_dot4_i32_iu8 v63, v5, v15, v63 neg_lo:[1,1,0]
	;; [unrolled: 1-line block ×6, first 2 shown]
	v_add_nc_u32_e32 v5, s1, v4
	v_dot4_i32_iu8 v61, v6, v12, v61 neg_lo:[1,1,0]
	v_dot4_i32_iu8 v34, v6, v13, v34 neg_lo:[1,1,0]
	;; [unrolled: 1-line block ×8, first 2 shown]
	ds_load_b128 v[12:15], v38 offset:22528
	v_dot4_i32_iu8 v88, v6, v16, v88 neg_lo:[1,1,0]
	v_dot4_i32_iu8 v89, v6, v17, v89 neg_lo:[1,1,0]
	;; [unrolled: 1-line block ×8, first 2 shown]
	ds_load_b128 v[16:19], v38 offset:22784
	ds_load_b128 v[20:23], v37 offset:6400
	buffer_load_b32 v4, v5, s[24:27], null offen
	v_add_nc_u32_e32 v6, s0, v5
	v_cmp_gt_i32_e32 vcc_lo, s45, v1
	buffer_load_b32 v5, v6, s[24:27], null offen
	s_wait_dscnt 0x2
	v_dot4_i32_iu8 v30, v8, v12, v81 neg_lo:[1,1,0]
	v_dot4_i32_iu8 v81, v8, v13, v82 neg_lo:[1,1,0]
	v_dot4_i32_iu8 v31, v8, v14, v31 neg_lo:[1,1,0]
	v_dot4_i32_iu8 v36, v8, v15, v36 neg_lo:[1,1,0]
	v_dot4_i32_iu8 v45, v9, v12, v45 neg_lo:[1,1,0]
	v_dot4_i32_iu8 v46, v9, v13, v46 neg_lo:[1,1,0]
	v_dot4_i32_iu8 v47, v9, v14, v47 neg_lo:[1,1,0]
	v_dot4_i32_iu8 v48, v9, v15, v48 neg_lo:[1,1,0]
	s_wait_dscnt 0x1
	v_dot4_i32_iu8 v82, v9, v16, v84 neg_lo:[1,1,0]
	v_dot4_i32_iu8 v84, v9, v17, v85 neg_lo:[1,1,0]
	v_dot4_i32_iu8 v85, v9, v18, v86 neg_lo:[1,1,0]
	v_dot4_i32_iu8 v86, v9, v19, v87 neg_lo:[1,1,0]
	v_add_nc_u32_e32 v87, s1, v6
	s_wait_dscnt 0x0
	v_dot4_i32_iu8 v90, v23, v19, v7 neg_lo:[1,1,0]
	v_dot4_i32_iu8 v49, v10, v12, v49 neg_lo:[1,1,0]
	v_dot4_i32_iu8 v50, v10, v13, v50 neg_lo:[1,1,0]
	v_dot4_i32_iu8 v51, v10, v14, v51 neg_lo:[1,1,0]
	buffer_load_b32 v6, v87, s[24:27], null offen
	v_add_nc_u32_e32 v87, s0, v87
	v_dot4_i32_iu8 v52, v10, v15, v52 neg_lo:[1,1,0]
	v_dot4_i32_iu8 v53, v11, v12, v53 neg_lo:[1,1,0]
	v_dot4_i32_iu8 v54, v11, v13, v54 neg_lo:[1,1,0]
	v_dot4_i32_iu8 v55, v11, v14, v55 neg_lo:[1,1,0]
	buffer_load_b32 v7, v87, s[24:27], null offen
	v_add_nc_u32_e32 v87, s1, v87
	;; [unrolled: 6-line block ×3, first 2 shown]
	v_dot4_i32_iu8 v60, v8, v19, v60 neg_lo:[1,1,0]
	v_dot4_i32_iu8 v83, v10, v16, v83 neg_lo:[1,1,0]
	;; [unrolled: 1-line block ×4, first 2 shown]
	buffer_load_b32 v92, v87, s[24:27], null offen
	v_add3_u32 v87, s1, s2, v87
	v_dot4_i32_iu8 v77, v10, v19, v77 neg_lo:[1,1,0]
	v_dot4_i32_iu8 v76, v11, v16, v76 neg_lo:[1,1,0]
	;; [unrolled: 1-line block ×4, first 2 shown]
	buffer_load_b32 v93, v87, s[24:27], null offen
	v_dot4_i32_iu8 v71, v11, v19, v71 neg_lo:[1,1,0]
	ds_load_b128 v[8:11], v37 offset:6656
	v_dot4_i32_iu8 v40, v20, v12, v40 neg_lo:[1,1,0]
	v_dot4_i32_iu8 v69, v20, v13, v69 neg_lo:[1,1,0]
	v_dot4_i32_iu8 v68, v20, v14, v68 neg_lo:[1,1,0]
	v_dot4_i32_iu8 v67, v20, v15, v67 neg_lo:[1,1,0]
	v_dot4_i32_iu8 v66, v21, v12, v66 neg_lo:[1,1,0]
	v_dot4_i32_iu8 v39, v21, v13, v39 neg_lo:[1,1,0]
	v_dot4_i32_iu8 v64, v21, v14, v64 neg_lo:[1,1,0]
	v_dot4_i32_iu8 v63, v21, v15, v63 neg_lo:[1,1,0]
	v_dot4_i32_iu8 v61, v22, v12, v61 neg_lo:[1,1,0]
	v_dot4_i32_iu8 v34, v22, v13, v34 neg_lo:[1,1,0]
	v_dot4_i32_iu8 v32, v22, v14, v32 neg_lo:[1,1,0]
	v_dot4_i32_iu8 v27, v22, v15, v27 neg_lo:[1,1,0]
	v_dot4_i32_iu8 v25, v23, v12, v25 neg_lo:[1,1,0]
	v_dot4_i32_iu8 v41, v23, v13, v41 neg_lo:[1,1,0]
	v_dot4_i32_iu8 v42, v23, v14, v42 neg_lo:[1,1,0]
	v_dot4_i32_iu8 v43, v23, v15, v43 neg_lo:[1,1,0]
	ds_load_b128 v[12:15], v38 offset:23040
	v_dot4_i32_iu8 v44, v20, v16, v44 neg_lo:[1,1,0]
	v_dot4_i32_iu8 v35, v20, v17, v35 neg_lo:[1,1,0]
	;; [unrolled: 1-line block ×15, first 2 shown]
	ds_load_b128 v[16:19], v38 offset:23296
	ds_load_b128 v[20:23], v37 offset:6912
	v_add_nc_u32_e32 v87, s0, v87
	s_wait_dscnt 0x2
	v_dot4_i32_iu8 v30, v8, v12, v30 neg_lo:[1,1,0]
	v_dot4_i32_iu8 v81, v8, v13, v81 neg_lo:[1,1,0]
	;; [unrolled: 1-line block ×16, first 2 shown]
	s_wait_dscnt 0x1
	v_dot4_i32_iu8 v57, v8, v16, v57 neg_lo:[1,1,0]
	v_dot4_i32_iu8 v58, v8, v17, v58 neg_lo:[1,1,0]
	;; [unrolled: 1-line block ×16, first 2 shown]
	ds_load_b128 v[8:11], v37 offset:7168
	s_wait_dscnt 0x1
	v_dot4_i32_iu8 v40, v20, v12, v40 neg_lo:[1,1,0]
	v_dot4_i32_iu8 v69, v20, v13, v69 neg_lo:[1,1,0]
	;; [unrolled: 1-line block ×16, first 2 shown]
	ds_load_b128 v[12:15], v38 offset:23552
	v_dot4_i32_iu8 v44, v20, v16, v44 neg_lo:[1,1,0]
	v_dot4_i32_iu8 v35, v20, v17, v35 neg_lo:[1,1,0]
	;; [unrolled: 1-line block ×16, first 2 shown]
	ds_load_b128 v[16:19], v38 offset:23808
	ds_load_b128 v[20:23], v37 offset:7424
	buffer_load_b32 v94, v87, s[24:27], null offen
	v_add_nc_u32_e32 v87, s1, v87
	s_wait_dscnt 0x2
	v_dot4_i32_iu8 v30, v8, v12, v30 neg_lo:[1,1,0]
	v_dot4_i32_iu8 v81, v8, v13, v81 neg_lo:[1,1,0]
	;; [unrolled: 1-line block ×4, first 2 shown]
	buffer_load_b32 v95, v87, s[24:27], null offen
	v_add_nc_u32_e32 v87, s0, v87
	v_dot4_i32_iu8 v45, v9, v12, v45 neg_lo:[1,1,0]
	v_dot4_i32_iu8 v46, v9, v13, v46 neg_lo:[1,1,0]
	;; [unrolled: 1-line block ×4, first 2 shown]
	buffer_load_b32 v96, v87, s[24:27], null offen
	v_add_nc_u32_e32 v87, s1, v87
	v_dot4_i32_iu8 v49, v10, v12, v49 neg_lo:[1,1,0]
	v_dot4_i32_iu8 v50, v10, v13, v50 neg_lo:[1,1,0]
	;; [unrolled: 1-line block ×8, first 2 shown]
	s_wait_dscnt 0x1
	v_dot4_i32_iu8 v57, v8, v16, v57 neg_lo:[1,1,0]
	v_dot4_i32_iu8 v58, v8, v17, v58 neg_lo:[1,1,0]
	;; [unrolled: 1-line block ×16, first 2 shown]
	ds_load_b128 v[8:11], v37 offset:7680
	s_wait_dscnt 0x1
	v_dot4_i32_iu8 v40, v20, v12, v40 neg_lo:[1,1,0]
	v_dot4_i32_iu8 v69, v20, v13, v69 neg_lo:[1,1,0]
	;; [unrolled: 1-line block ×16, first 2 shown]
	ds_load_b128 v[12:15], v38 offset:24064
	buffer_load_b32 v97, v87, s[24:27], null offen
	v_dot4_i32_iu8 v44, v20, v16, v44 neg_lo:[1,1,0]
	v_dot4_i32_iu8 v35, v20, v17, v35 neg_lo:[1,1,0]
	v_dot4_i32_iu8 v33, v20, v18, v33 neg_lo:[1,1,0]
	v_dot4_i32_iu8 v28, v20, v19, v28 neg_lo:[1,1,0]
	v_dot4_i32_iu8 v26, v21, v16, v26 neg_lo:[1,1,0]
	v_dot4_i32_iu8 v24, v21, v17, v24 neg_lo:[1,1,0]
	v_dot4_i32_iu8 v65, v21, v18, v65 neg_lo:[1,1,0]
	v_dot4_i32_iu8 v70, v21, v19, v70 neg_lo:[1,1,0]
	v_dot4_i32_iu8 v88, v22, v16, v88 neg_lo:[1,1,0]
	v_dot4_i32_iu8 v89, v22, v17, v89 neg_lo:[1,1,0]
	v_dot4_i32_iu8 v62, v22, v18, v62 neg_lo:[1,1,0]
	v_dot4_i32_iu8 v79, v22, v19, v79 neg_lo:[1,1,0]
	v_dot4_i32_iu8 v72, v23, v16, v72 neg_lo:[1,1,0]
	v_dot4_i32_iu8 v73, v23, v17, v73 neg_lo:[1,1,0]
	v_dot4_i32_iu8 v29, v23, v18, v29 neg_lo:[1,1,0]
	v_dot4_i32_iu8 v90, v23, v19, v90 neg_lo:[1,1,0]
	ds_load_b128 v[16:19], v38 offset:24320
	ds_load_b128 v[20:23], v37 offset:7936
	v_add_nc_u32_e32 v38, s0, v87
	s_wait_dscnt 0x2
	v_dot4_i32_iu8 v37, v8, v13, v81 neg_lo:[1,1,0]
	v_dot4_i32_iu8 v30, v8, v12, v30 neg_lo:[1,1,0]
	;; [unrolled: 1-line block ×4, first 2 shown]
	buffer_load_b32 v81, v38, s[24:27], null offen
	v_add_nc_u32_e32 v38, s1, v38
	v_cmp_gt_i32_e64 s1, s33, v0
	v_dot4_i32_iu8 v45, v9, v12, v45 neg_lo:[1,1,0]
	v_dot4_i32_iu8 v49, v10, v12, v49 neg_lo:[1,1,0]
	;; [unrolled: 1-line block ×10, first 2 shown]
	s_wait_dscnt 0x1
	v_dot4_i32_iu8 v57, v8, v16, v57 neg_lo:[1,1,0]
	v_dot4_i32_iu8 v58, v8, v17, v58 neg_lo:[1,1,0]
	;; [unrolled: 1-line block ×7, first 2 shown]
	buffer_load_b32 v85, v38, s[24:27], null offen
	v_add_nc_u32_e32 v38, s0, v38
	s_and_b32 s0, s1, vcc_lo
	s_wait_dscnt 0x0
	v_dot4_i32_iu8 v40, v20, v12, v40 neg_lo:[1,1,0]
	v_dot4_i32_iu8 v66, v21, v12, v66 neg_lo:[1,1,0]
	;; [unrolled: 1-line block ×3, first 2 shown]
	buffer_load_b32 v38, v38, s[24:27], null offen
	v_dot4_i32_iu8 v12, v23, v12, v25 neg_lo:[1,1,0]
	v_dot4_i32_iu8 v25, v20, v16, v44 neg_lo:[1,1,0]
	v_dot4_i32_iu8 v78, v10, v18, v78 neg_lo:[1,1,0]
	v_dot4_i32_iu8 v74, v11, v18, v74 neg_lo:[1,1,0]
	v_dot4_i32_iu8 v69, v20, v13, v69 neg_lo:[1,1,0]
	v_dot4_i32_iu8 v68, v20, v14, v68 neg_lo:[1,1,0]
	v_dot4_i32_iu8 v67, v20, v15, v67 neg_lo:[1,1,0]
	v_dot4_i32_iu8 v63, v21, v15, v63 neg_lo:[1,1,0]
	v_dot4_i32_iu8 v27, v22, v15, v27 neg_lo:[1,1,0]
	v_dot4_i32_iu8 v15, v23, v15, v43 neg_lo:[1,1,0]
	v_dot4_i32_iu8 v35, v20, v17, v35 neg_lo:[1,1,0]
	v_dot4_i32_iu8 v33, v20, v18, v33 neg_lo:[1,1,0]
	v_dot4_i32_iu8 v20, v20, v19, v28 neg_lo:[1,1,0]
	v_dot4_i32_iu8 v28, v21, v18, v65 neg_lo:[1,1,0]
	v_dot4_i32_iu8 v43, v22, v18, v62 neg_lo:[1,1,0]
	v_dot4_i32_iu8 v18, v23, v18, v29 neg_lo:[1,1,0]
	v_add_nc_u32_e32 v29, 64, v1
	v_dot4_i32_iu8 v54, v11, v13, v54 neg_lo:[1,1,0]
	v_dot4_i32_iu8 v55, v11, v14, v55 neg_lo:[1,1,0]
	;; [unrolled: 1-line block ×8, first 2 shown]
	s_wait_loadcnt 0xf
	v_cndmask_b32_e64 v2, 0, v2, s0
	v_cmp_gt_i32_e64 s0, s45, v29
	v_dot4_i32_iu8 v11, v11, v19, v71 neg_lo:[1,1,0]
	v_dot4_i32_iu8 v39, v21, v13, v39 neg_lo:[1,1,0]
	;; [unrolled: 1-line block ×3, first 2 shown]
	v_lshrrev_b32_e32 v44, 8, v2
	v_add_nc_u16 v30, v2, v30
	v_dot4_i32_iu8 v34, v22, v13, v34 neg_lo:[1,1,0]
	v_dot4_i32_iu8 v32, v22, v14, v32 neg_lo:[1,1,0]
	;; [unrolled: 1-line block ×3, first 2 shown]
	v_add_nc_u16 v37, v44, v37
	v_dot4_i32_iu8 v14, v23, v14, v42 neg_lo:[1,1,0]
	v_dot4_i32_iu8 v26, v21, v16, v26 neg_lo:[1,1,0]
	;; [unrolled: 1-line block ×10, first 2 shown]
	v_bfe_i32 v23, v30, 0, 8
	v_bfe_i32 v30, v37, 0, 8
	v_lshrrev_b32_e32 v37, 16, v2
	v_lshrrev_b32_e32 v2, 24, v2
	s_and_b32 s1, s1, s0
	v_add_nc_u32_e32 v77, 0x43, v0
	s_wait_loadcnt 0xe
	s_wait_alu 0xfffe
	v_cndmask_b32_e64 v3, 0, v3, s1
	v_add_nc_u16 v31, v37, v31
	v_add_nc_u16 v2, v2, v36
	v_or_b32_e32 v37, 1, v0
	v_max_i16 v23, v23, 0
	v_lshrrev_b32_e32 v44, 8, v3
	v_add_nc_u16 v36, v3, v57
	v_bfe_i32 v2, v2, 0, 8
	v_cmp_gt_i32_e64 s1, s33, v37
	v_max_i16 v30, v30, 0
	v_bfe_i32 v31, v31, 0, 8
	v_bfe_i32 v36, v36, 0, 8
	v_max_i16 v57, v2, 0
	v_add_nc_u16 v2, v44, v58
	s_and_b32 s2, s1, vcc_lo
	v_lshrrev_b32_e32 v44, 16, v3
	s_wait_loadcnt 0xd
	s_wait_alu 0xfffe
	v_cndmask_b32_e64 v4, 0, v4, s2
	v_lshrrev_b32_e32 v3, 24, v3
	v_bfe_i32 v2, v2, 0, 8
	s_and_b32 s1, s1, s0
	v_add_nc_u16 v44, v44, v59
	v_lshrrev_b32_e32 v58, 8, v4
	v_add_nc_u16 v3, v3, v8
	v_max_i16 v2, v2, 0
	s_wait_loadcnt 0xc
	s_wait_alu 0xfffe
	v_cndmask_b32_e64 v5, 0, v5, s1
	v_bfe_i32 v8, v44, 0, 8
	v_add_nc_u16 v44, v4, v45
	v_add_nc_u16 v45, v58, v46
	v_and_b32_e32 v46, 0xffff, v2
	v_bfe_i32 v2, v3, 0, 8
	v_max_i16 v3, v8, 0
	v_bfe_i32 v8, v44, 0, 8
	v_bfe_i32 v44, v45, 0, 8
	v_lshrrev_b32_e32 v45, 16, v4
	v_max_i16 v58, v2, 0
	v_lshrrev_b32_e32 v2, 24, v4
	v_max_i16 v4, v8, 0
	v_max_i16 v8, v44, 0
	v_add_nc_u16 v44, v45, v47
	v_or_b32_e32 v47, 2, v0
	v_add_nc_u16 v2, v2, v48
	v_lshrrev_b32_e32 v48, 8, v5
	v_add_nc_u16 v45, v5, v60
	v_and_b32_e32 v23, 0xffff, v23
	v_cmp_gt_i32_e64 s1, s33, v47
	v_bfe_i32 v2, v2, 0, 8
	v_and_b32_e32 v30, 0xffff, v30
	v_max_i16 v31, v31, 0
	v_max_i16 v36, v36, 0
	s_and_b32 s2, s1, vcc_lo
	v_max_i16 v59, v2, 0
	v_add_nc_u16 v2, v48, v82
	v_lshrrev_b32_e32 v48, 16, v5
	s_wait_loadcnt 0xb
	s_wait_alu 0xfffe
	v_cndmask_b32_e64 v6, 0, v6, s2
	v_lshrrev_b32_e32 v5, 24, v5
	s_and_b32 s1, s1, s0
	v_bfe_i32 v2, v2, 0, 8
	v_add_nc_u16 v48, v48, v84
	v_lshrrev_b32_e32 v60, 8, v6
	v_add_nc_u16 v5, v5, v9
	s_wait_loadcnt 0xa
	s_wait_alu 0xfffe
	v_cndmask_b32_e64 v7, 0, v7, s1
	v_max_i16 v2, v2, 0
	v_bfe_i32 v9, v48, 0, 8
	v_add_nc_u16 v48, v6, v49
	v_add_nc_u16 v49, v60, v50
	v_and_b32_e32 v36, 0xffff, v36
	v_and_b32_e32 v50, 0xffff, v2
	v_bfe_i32 v2, v5, 0, 8
	v_max_i16 v5, v9, 0
	v_bfe_i32 v9, v48, 0, 8
	v_bfe_i32 v48, v49, 0, 8
	v_lshrrev_b32_e32 v49, 16, v6
	v_max_i16 v60, v2, 0
	v_lshrrev_b32_e32 v2, 24, v6
	v_max_i16 v6, v9, 0
	v_max_i16 v9, v48, 0
	v_add_nc_u16 v48, v49, v51
	v_or_b32_e32 v51, 3, v0
	v_add_nc_u16 v2, v2, v52
	v_lshrrev_b32_e32 v52, 8, v7
	v_add_nc_u16 v49, v7, v83
	v_bfe_i32 v45, v45, 0, 8
	v_cmp_gt_i32_e64 s1, s33, v51
	v_bfe_i32 v2, v2, 0, 8
	v_bfe_i32 v44, v44, 0, 8
	;; [unrolled: 1-line block ×3, first 2 shown]
	v_max_i16 v45, v45, 0
	s_and_b32 s2, s1, vcc_lo
	v_max_i16 v62, v2, 0
	v_add_nc_u16 v2, v52, v80
	v_lshrrev_b32_e32 v52, 16, v7
	s_wait_loadcnt 0x9
	s_wait_alu 0xfffe
	v_cndmask_b32_e64 v65, 0, v91, s2
	v_lshrrev_b32_e32 v7, 24, v7
	s_and_b32 s1, s1, s0
	v_bfe_i32 v2, v2, 0, 8
	v_add_nc_u16 v52, v52, v78
	v_lshrrev_b32_e32 v70, 8, v65
	v_add_nc_u16 v7, v7, v10
	v_and_b32_e32 v45, 0xffff, v45
	v_max_i16 v2, v2, 0
	v_bfe_i32 v10, v52, 0, 8
	v_add_nc_u16 v52, v65, v53
	v_add_nc_u16 v53, v70, v54
	v_bfe_i32 v49, v49, 0, 8
	v_and_b32_e32 v54, 0xffff, v2
	v_bfe_i32 v2, v7, 0, 8
	v_max_i16 v7, v10, 0
	v_bfe_i32 v10, v52, 0, 8
	v_bfe_i32 v52, v53, 0, 8
	v_lshrrev_b32_e32 v53, 16, v65
	v_max_i16 v70, v2, 0
	v_lshrrev_b32_e32 v2, 24, v65
	v_or_b32_e32 v65, 64, v0
	v_and_b32_e32 v4, 0xffff, v4
	v_add_nc_u16 v53, v53, v55
	s_wait_loadcnt 0x8
	s_wait_alu 0xfffe
	v_cndmask_b32_e64 v55, 0, v92, s1
	v_add_nc_u16 v2, v2, v56
	v_cmp_gt_i32_e64 s1, s33, v65
	v_and_b32_e32 v8, 0xffff, v8
	v_max_i16 v44, v44, 0
	v_lshrrev_b32_e32 v71, 8, v55
	v_bfe_i32 v2, v2, 0, 8
	s_and_b32 s2, s1, vcc_lo
	v_add_nc_u16 v56, v55, v76
	s_wait_loadcnt 0x7
	s_wait_alu 0xfffe
	v_cndmask_b32_e64 v73, 0, v93, s2
	s_and_b32 s1, s1, s0
	v_max_i16 v72, v2, 0
	v_add_nc_u16 v2, v71, v75
	v_lshrrev_b32_e32 v71, 16, v55
	v_lshrrev_b32_e32 v55, 24, v55
	v_add_nc_u16 v40, v73, v40
	v_and_b32_e32 v6, 0xffff, v6
	v_bfe_i32 v2, v2, 0, 8
	v_add_nc_u16 v71, v71, v74
	v_lshrrev_b32_e32 v74, 8, v73
	v_add_nc_u16 v11, v55, v11
	v_and_b32_e32 v9, 0xffff, v9
	v_max_i16 v2, v2, 0
	v_bfe_i32 v55, v71, 0, 8
	v_add_nc_u16 v69, v74, v69
	v_max_i16 v48, v48, 0
	v_lshlrev_b32_e32 v5, 16, v5
	v_and_b32_e32 v71, 0xffff, v2
	v_bfe_i32 v2, v11, 0, 8
	v_max_i16 v11, v55, 0
	v_bfe_i32 v55, v69, 0, 8
	v_lshrrev_b32_e32 v69, 16, v73
	v_max_i16 v49, v49, 0
	v_max_i16 v74, v2, 0
	v_lshrrev_b32_e32 v2, 24, v73
	v_bfe_i32 v56, v56, 0, 8
	v_add_nc_u16 v68, v69, v68
	v_lshl_or_b32 v4, v8, 8, v4
	v_lshlrev_b32_e32 v8, 16, v44
	v_add_nc_u16 v2, v2, v67
	v_lshl_or_b32 v6, v9, 8, v6
	v_bfe_i32 v67, v68, 0, 8
	v_add_nc_u32_e32 v68, 0x41, v0
	v_lshlrev_b32_e32 v9, 16, v48
	v_bfe_i32 v2, v2, 0, 8
	v_and_b32_e32 v49, 0xffff, v49
	v_max_i16 v56, v56, 0
	s_wait_loadcnt 0x6
	s_wait_alu 0xfffe
	v_cndmask_b32_e64 v69, 0, v94, s1
	v_cmp_gt_i32_e64 s1, s33, v68
	v_max_i16 v75, v2, 0
	v_max_i16 v10, v10, 0
	v_max_i16 v52, v52, 0
	v_lshrrev_b32_e32 v73, 8, v69
	s_and_b32 s2, s1, vcc_lo
	v_add_nc_u16 v25, v69, v25
	s_and_b32 s1, s1, s0
	v_bfe_i32 v53, v53, 0, 8
	v_add_nc_u16 v2, v73, v35
	v_lshrrev_b32_e32 v35, 16, v69
	s_wait_loadcnt 0x5
	s_wait_alu 0xfffe
	v_cndmask_b32_e64 v73, 0, v95, s2
	v_lshrrev_b32_e32 v69, 24, v69
	v_and_b32_e32 v56, 0xffff, v56
	v_bfe_i32 v2, v2, 0, 8
	v_add_nc_u16 v33, v35, v33
	v_lshrrev_b32_e32 v35, 8, v73
	v_add_nc_u16 v20, v69, v20
	v_add_nc_u16 v66, v73, v66
	v_max_i16 v2, v2, 0
	v_bfe_i32 v33, v33, 0, 8
	v_add_nc_u16 v35, v35, v39
	v_lshlrev_b32_e32 v7, 16, v7
	v_and_b32_e32 v10, 0xffff, v10
	v_and_b32_e32 v39, 0xffff, v2
	v_bfe_i32 v2, v20, 0, 8
	v_max_i16 v20, v33, 0
	v_bfe_i32 v33, v66, 0, 8
	v_lshrrev_b32_e32 v66, 16, v73
	v_and_b32_e32 v52, 0xffff, v52
	v_max_i16 v69, v2, 0
	v_lshrrev_b32_e32 v2, 24, v73
	v_max_i16 v53, v53, 0
	v_add_nc_u16 v64, v66, v64
	s_wait_loadcnt 0x4
	v_cndmask_b32_e64 v66, 0, v96, s1
	v_lshl_or_b32 v10, v52, 8, v10
	v_add_nc_u16 v2, v2, v63
	v_bfe_i32 v35, v35, 0, 8
	v_bfe_i32 v63, v64, 0, 8
	v_add_nc_u32_e32 v64, 0x42, v0
	v_lshrrev_b32_e32 v73, 8, v66
	v_bfe_i32 v2, v2, 0, 8
	v_add_nc_u16 v26, v66, v26
	v_max_i16 v33, v33, 0
	v_cmp_gt_i32_e64 s1, s33, v64
	v_max_i16 v35, v35, 0
	v_max_i16 v76, v2, 0
	v_add_nc_u16 v2, v73, v24
	v_lshrrev_b32_e32 v24, 16, v66
	s_and_b32 s2, s1, vcc_lo
	s_and_b32 s1, s1, s0
	v_and_b32_e32 v33, 0xffff, v33
	v_bfe_i32 v2, v2, 0, 8
	v_add_nc_u16 v24, v24, v28
	v_lshrrev_b32_e32 v28, 24, v66
	s_wait_loadcnt 0x3
	s_wait_alu 0xfffe
	v_cndmask_b32_e64 v73, 0, v97, s2
	v_and_b32_e32 v35, 0xffff, v35
	v_max_i16 v2, v2, 0
	v_max_i16 v63, v63, 0
	v_add_nc_u16 v21, v28, v21
	v_lshrrev_b32_e32 v66, 8, v73
	v_add_nc_u16 v28, v73, v61
	v_and_b32_e32 v61, 0xffff, v2
	v_bfe_i32 v26, v26, 0, 8
	v_bfe_i32 v2, v21, 0, 8
	v_add_nc_u16 v34, v66, v34
	v_bfe_i32 v21, v28, 0, 8
	v_lshrrev_b32_e32 v66, 24, v73
	v_bfe_i32 v25, v25, 0, 8
	v_max_i16 v26, v26, 0
	v_bfe_i32 v28, v34, 0, 8
	v_lshrrev_b32_e32 v34, 16, v73
	v_max_i16 v73, v2, 0
	v_max_i16 v2, v21, 0
	v_add_nc_u16 v27, v66, v27
	v_max_i16 v21, v28, 0
	v_add_nc_u16 v28, v34, v32
	v_bfe_i32 v24, v24, 0, 8
	s_wait_loadcnt 0x2
	v_cndmask_b32_e64 v32, 0, v81, s1
	v_and_b32_e32 v34, 0xffff, v2
	v_cmp_gt_i32_e64 s1, s33, v77
	v_bfe_i32 v2, v28, 0, 8
	v_bfe_i32 v27, v27, 0, 8
	v_add_nc_u16 v28, v32, v41
	v_lshrrev_b32_e32 v41, 8, v32
	s_and_b32 vcc_lo, s1, vcc_lo
	v_max_i16 v66, v2, 0
	v_and_b32_e32 v21, 0xffff, v21
	v_bfe_i32 v2, v28, 0, 8
	v_add_nc_u16 v28, v41, v42
	v_lshrrev_b32_e32 v41, 16, v32
	v_lshrrev_b32_e32 v32, 24, v32
	v_max_i16 v27, v27, 0
	v_max_i16 v2, v2, 0
	v_bfe_i32 v28, v28, 0, 8
	v_add_nc_u16 v41, v41, v43
	v_add_nc_u16 v22, v32, v22
	v_bfe_i32 v40, v40, 0, 8
	s_wait_loadcnt 0x1
	v_cndmask_b32_e32 v32, 0, v85, vcc_lo
	v_and_b32_e32 v42, 0xffff, v2
	v_max_i16 v2, v28, 0
	v_bfe_i32 v28, v41, 0, 8
	s_and_b32 vcc_lo, s1, s0
	v_lshrrev_b32_e32 v41, 8, v32
	s_wait_loadcnt 0x0
	s_wait_alu 0xfffe
	v_cndmask_b32_e32 v38, 0, v38, vcc_lo
	v_and_b32_e32 v43, 0xffff, v2
	v_add_nc_u16 v12, v32, v12
	v_cmp_gt_i32_e32 vcc_lo, s28, v1
	v_add_nc_u16 v2, v41, v13
	v_lshrrev_b32_e32 v13, 16, v32
	v_add_nc_u16 v16, v38, v16
	v_cmp_gt_i32_e64 s0, s15, v0
	v_bfe_i32 v12, v12, 0, 8
	v_bfe_i32 v2, v2, 0, 8
	v_add_nc_u16 v13, v13, v14
	v_lshrrev_b32_e32 v14, 24, v32
	v_lshrrev_b32_e32 v32, 8, v38
	s_and_b32 s1, s0, vcc_lo
	v_max_i16 v2, v2, 0
	v_max_i16 v12, v12, 0
	v_bfe_i32 v13, v13, 0, 8
	v_add_nc_u16 v17, v32, v17
	v_bfe_i32 v22, v22, 0, 8
	v_and_b32_e32 v32, 0xffff, v2
	v_add_nc_u16 v2, v14, v15
	v_bfe_i32 v14, v16, 0, 8
	v_bfe_i32 v15, v17, 0, 8
	v_lshrrev_b32_e32 v17, 24, v38
	v_lshrrev_b32_e32 v16, 16, v38
	v_bfe_i32 v2, v2, 0, 8
	v_and_b32_e32 v12, 0xffff, v12
	v_max_i16 v13, v13, 0
	v_add_nc_u16 v17, v17, v19
	v_add_nc_u16 v16, v16, v18
	v_max_i16 v18, v2, 0
	v_mul_lo_u32 v2, v0, s34
	v_lshl_or_b32 v19, v30, 8, v23
	v_bfe_i32 v17, v17, 0, 8
	v_bfe_i32 v16, v16, 0, 8
	v_lshlrev_b32_e32 v23, 16, v31
	v_lshlrev_b32_e32 v30, 24, v57
	v_max_i16 v14, v14, 0
	v_max_i16 v15, v15, 0
	v_mad_co_u64_u32 v[0:1], null, v1, s35, v[2:3]
	v_max_i16 v2, v17, 0
	s_wait_alu 0xfffe
	v_cndmask_b32_e64 v17, 0x80000000, 0, s1
	v_cmp_gt_i32_e64 s1, s28, v29
	v_max_i16 v1, v16, 0
	v_or3_b32 v16, v19, v23, v30
	v_lshl_or_b32 v23, v46, 8, v36
	v_add_nc_u32_e32 v19, s3, v0
	s_and_b32 s0, s0, s1
	v_lshlrev_b32_e32 v3, 16, v3
	v_lshlrev_b32_e32 v29, 24, v58
	s_wait_alu 0xfffe
	v_cndmask_b32_e64 v30, 0x80000000, 0, s0
	v_cmp_gt_i32_e64 s0, s15, v37
	v_add_nc_u32_e32 v17, v17, v0
	v_add_nc_u32_e32 v0, s34, v0
	v_or3_b32 v3, v23, v3, v29
	v_add_nc_u32_e32 v23, v30, v19
	s_and_b32 s2, s0, s1
	s_clause 0x1
	buffer_store_b32 v16, v17, s[20:23], null offen
	buffer_store_b32 v3, v23, s[20:23], null offen
	v_cndmask_b32_e64 v16, 0x80000000, 0, s2
	v_cmp_gt_i32_e64 s2, s15, v47
	v_lshl_or_b32 v29, v50, 8, v45
	v_lshlrev_b32_e32 v30, 24, v60
	s_and_b32 s0, s0, vcc_lo
	v_add_nc_u32_e32 v3, s34, v19
	s_wait_alu 0xfffe
	v_cndmask_b32_e64 v19, 0x80000000, 0, s0
	s_and_b32 s0, s2, vcc_lo
	v_lshlrev_b32_e32 v17, 24, v59
	v_or3_b32 v5, v29, v5, v30
	v_lshlrev_b32_e32 v23, 24, v62
	s_wait_alu 0xfffe
	v_cndmask_b32_e64 v29, 0x80000000, 0, s0
	v_add_nc_u32_e32 v16, v16, v3
	v_add_nc_u32_e32 v3, s34, v3
	s_and_b32 s0, s2, s1
	v_or3_b32 v4, v4, v8, v17
	v_add_nc_u32_e32 v8, v0, v19
	v_or3_b32 v6, v6, v9, v23
	v_add3_u32 v0, v29, s34, v0
	s_wait_alu 0xfffe
	v_cndmask_b32_e64 v19, 0x80000000, 0, s0
	v_cmp_gt_i32_e64 s0, s15, v51
	v_lshl_or_b32 v9, v54, 8, v49
	v_lshlrev_b32_e32 v17, 24, v70
	s_clause 0x2
	buffer_store_b32 v5, v16, s[20:23], null offen
	buffer_store_b32 v4, v8, s[20:23], null offen
	;; [unrolled: 1-line block ×3, first 2 shown]
	v_add_nc_u32_e32 v5, s34, v3
	s_and_b32 s2, s0, s1
	s_and_b32 s0, s0, vcc_lo
	v_or3_b32 v0, v9, v7, v17
	v_add_nc_u32_e32 v4, v3, v19
	v_lshl_or_b32 v6, v71, 8, v56
	v_lshlrev_b32_e32 v7, 16, v11
	v_lshlrev_b32_e32 v8, 24, v74
	s_wait_alu 0xfffe
	v_cndmask_b32_e64 v9, 0x80000000, 0, s2
	v_subrev_nc_u32_e32 v11, s3, v5
	v_lshlrev_b32_e32 v16, 16, v53
	v_lshlrev_b32_e32 v17, 24, v72
	v_cndmask_b32_e64 v19, 0x80000000, 0, s0
	v_cmp_gt_i32_e64 s0, s15, v77
	buffer_store_b32 v0, v4, s[20:23], null offen
	v_or3_b32 v0, v6, v7, v8
	v_add_nc_u32_e32 v4, v5, v9
	v_or3_b32 v6, v10, v16, v17
	v_add_nc_u32_e32 v7, v11, v19
	s_and_b32 s4, s0, vcc_lo
	s_and_b32 s0, s0, s1
	s_clause 0x1
	buffer_store_b32 v0, v4, s[20:23], null offen
	buffer_store_b32 v6, v7, s[20:23], null offen
	v_cndmask_b32_e64 v7, 0x80000000, 0, s0
	v_cmp_ge_i32_e64 s0, s15, v77
	v_max_i16 v28, v28, 0
	v_max_i16 v22, v22, 0
	v_and_b32_e32 v14, 0xffff, v14
	v_and_b32_e32 v15, 0xffff, v15
	v_lshl_or_b32 v8, v32, 8, v12
	v_lshlrev_b32_e32 v9, 16, v13
	v_lshlrev_b32_e32 v10, 24, v18
	s_and_b32 s0, s0, s1
	v_lshl_or_b32 v6, v15, 8, v14
	s_wait_alu 0xfffe
	v_cndmask_b32_e64 v12, 0x80000000, 0, s0
	v_cmp_gt_i32_e64 s0, s15, v64
	v_or3_b32 v0, v8, v9, v10
	v_lshlrev_b32_e32 v1, 16, v1
	v_lshlrev_b32_e32 v2, 24, v2
	v_lshl_or_b32 v8, v43, 8, v42
	v_lshlrev_b32_e32 v9, 16, v28
	v_lshlrev_b32_e32 v10, 24, v22
	s_lshl_b32 s2, s34, 6
	v_cndmask_b32_e64 v4, 0x80000000, 0, s4
	s_and_b32 s0, s0, vcc_lo
	s_wait_alu 0xfffe
	v_add_nc_u32_e32 v3, s2, v3
	v_or3_b32 v1, v6, v1, v2
	v_add3_u32 v2, v5, s2, v7
	v_or3_b32 v5, v8, v9, v10
	v_cndmask_b32_e64 v10, 0x80000000, 0, s0
	v_cmp_ge_i32_e64 s0, s15, v64
	v_add3_u32 v4, v4, s2, v11
	v_add_nc_u32_e32 v6, v3, v12
	v_subrev_nc_u32_e32 v3, s3, v3
	s_clause 0x2
	buffer_store_b32 v0, v4, s[20:23], null offen
	buffer_store_b32 v1, v2, s[20:23], null offen
	;; [unrolled: 1-line block ×3, first 2 shown]
	s_and_b32 s0, s0, vcc_lo
	v_add_nc_u32_e32 v1, v3, v10
	s_wait_alu 0xfffe
	v_cndmask_b32_e64 v6, 0x80000000, 0, s0
	v_cmp_gt_i32_e64 s0, s15, v68
	v_subrev_nc_u32_e32 v2, s34, v3
	v_lshl_or_b32 v3, v35, 8, v33
	v_lshlrev_b32_e32 v4, 16, v63
	v_lshlrev_b32_e32 v5, 24, v76
	s_and_b32 s0, s0, s1
	v_max_i16 v25, v25, 0
	v_and_b32_e32 v26, 0xffff, v26
	v_max_i16 v24, v24, 0
	v_or3_b32 v3, v3, v4, v5
	v_add_nc_u32_e32 v4, s3, v2
	v_add_nc_u32_e32 v2, v2, v6
	s_wait_alu 0xfffe
	v_cndmask_b32_e64 v6, 0x80000000, 0, s0
	v_cmp_gt_i32_e64 s0, s15, v65
	v_lshl_or_b32 v7, v21, 8, v34
	v_lshlrev_b32_e32 v8, 16, v66
	v_lshlrev_b32_e32 v9, 24, v27
	v_max_i16 v40, v40, 0
	v_max_i16 v55, v55, 0
	v_cmp_ge_i32_e64 s2, s15, v68
	s_and_b32 s0, s0, vcc_lo
	v_and_b32_e32 v25, 0xffff, v25
	v_or3_b32 v0, v7, v8, v9
	v_lshl_or_b32 v7, v61, 8, v26
	v_lshlrev_b32_e32 v8, 16, v24
	v_lshlrev_b32_e32 v9, 24, v73
	v_and_b32_e32 v40, 0xffff, v40
	v_and_b32_e32 v55, 0xffff, v55
	v_max_i16 v67, v67, 0
	s_wait_alu 0xfffe
	v_cndmask_b32_e64 v11, 0x80000000, 0, s0
	s_and_b32 s0, s2, s1
	v_or3_b32 v5, v7, v8, v9
	v_subrev_nc_u32_e32 v7, s34, v4
	v_lshl_or_b32 v8, v39, 8, v25
	v_lshlrev_b32_e32 v9, 16, v20
	v_lshlrev_b32_e32 v10, 24, v69
	s_wait_alu 0xfffe
	v_cndmask_b32_e64 v12, 0x80000000, 0, s0
	v_lshl_or_b32 v13, v55, 8, v40
	v_lshlrev_b32_e32 v14, 16, v67
	v_lshlrev_b32_e32 v15, 24, v75
	v_subrev_nc_u32_e32 v11, s3, v11
	v_add_nc_u32_e32 v4, v4, v6
	v_or3_b32 v6, v8, v9, v10
	v_add_nc_u32_e32 v8, v7, v12
	v_or3_b32 v9, v13, v14, v15
	v_add_nc_u32_e32 v7, v11, v7
	s_clause 0x4
	buffer_store_b32 v0, v1, s[20:23], null offen
	buffer_store_b32 v3, v2, s[20:23], null offen
	;; [unrolled: 1-line block ×5, first 2 shown]
	s_nop 0
	s_sendmsg sendmsg(MSG_DEALLOC_VGPRS)
	s_endpgm
	.section	.rodata,"a",@progbits
	.p2align	6, 0x0
	.amdhsa_kernel _ZN2ck16tensor_operation6device12_GLOBAL__N_137kernel_grouped_conv_fwd_dl_multiple_dINS_32GridwiseGemmDlMultipleD_km_kn_mnILi256EaiNS_5TupleIJaEEEaNS0_12element_wise11PassThroughES8_NS7_7AddReluELNS_25InMemoryDataOperationEnumE0ENS_16TensorDescriptorINS5_IJNS_5EmbedINS5_IJiiiiEEESD_Lb0EEENS_11PassThroughIiEENS_3PadIiiiLb0EEESI_SG_SG_NSC_INS5_IJiiEEESJ_Lb0EEESK_SG_NS_23Merge_v2_magic_divisionINS5_IJiiiEEEEESN_NS_8RightPadIiiLb0EEESP_NS_7UnMergeISJ_Lb0EEESG_EEENS5_IJNS_8SequenceIJLi0EEEENST_IJLi1EEEENST_IJLi2EEEENST_IJLi3EEEENST_IJLi4EEEENST_IJLi5EEEENST_IJLi6EEEENST_IJLi7EEEENST_IJLi8EEEENST_IJLi9ELi11ELi13EEEENST_IJLi10ELi12ELi14EEEENST_IJLi15EEEENST_IJLi16EEEENST_IJLi18EEEENST_IJLi17EEEEEEENS5_IJNST_IJLi1ELi2ELi3ELi4EEEESZ_S10_S11_S12_NST_IJLi9EEEENST_IJLi10ELi11EEEENST_IJLi12ELi13EEEENST_IJLi14EEEES15_S16_S18_S17_NST_IJLi19ELi20EEEENST_IJLi21EEEEEEENST_IJLi19ELi21ELi20EEEElEENSB_INS5_IJSR_SP_SP_SR_SG_EEENS5_IJSU_SV_SW_SY_SX_EEENS5_IJNST_IJLi1ELi2EEEESX_SY_NST_IJLi5ELi6EEEES11_EEENST_IJLi5ELi7ELi6EEEElEENSB_INS5_IJSK_SP_SP_EEENS5_IJSU_SV_SW_EEENS5_IJS1M_SX_SY_EEENST_IJLi3ELi4EEEElEELi128ELi128ELi16ELi4ELi4ELi4ELi1ENST_IJLi8ELi2EEEES1W_NST_IJLi8ELi1ELi1ELi4EEEENST_IJLi2ELi1ELi128ELi1EEEENST_IJLi1ELi2ELi0ELi3EEEES1Z_NST_IJLi4ELi1ELi1ELi4EEEES1Z_NST_IJLi1ELi1ELi1ELi4EEEES1X_S1Y_S1Z_S1Z_S20_S1Z_S21_NST_IJLi0ELi1ELi2ELi3ELi4ELi5EEEELi5ELi4EEEaNS5_IJPKaEEEaS8_S8_S9_NSB_INS5_IJSE_SG_SI_SI_SG_SG_SK_SK_SG_SN_SN_SP_SP_SR_SG_SG_NSQ_INS5_IJiNS_17integral_constantIiLi128EEEEEELb0EEENSF_INS27_IiLi4EEEEEEEENS5_IJSU_SV_SW_SX_SY_SZ_S10_S11_S12_S13_S14_S15_S16_S17_S18_NST_IJLi19EEEES1G_NST_IJLi20EEEEEEENS5_IJS1A_SZ_S10_S11_S12_S1B_S1C_S1D_S1E_S15_S16_S18_S17_S1F_S1G_NST_IJLi22EEEENST_IJLi23ELi24EEEENST_IJLi25EEEEEEENST_IJLi22ELi23ELi24ELi25EEEElEENSB_INS5_IJSR_SP_SP_SR_SG_SG_S2A_S2C_EEENS5_IJSU_SV_SW_SY_SX_SZ_S11_S10_EEENS5_IJS1M_SX_SY_S1N_S11_S12_NST_IJLi9ELi10EEEENST_IJLi11EEEEEEENST_IJLi8ELi9ELi10ELi11EEEElEENS5_IJNSB_INS5_IJSK_SP_SP_NSQ_INS5_IJiNS27_IiLi2EEENS27_IiLi64EEEEEELb0EEES2X_EEENS5_IJSU_SV_SW_SX_SY_EEENS5_IJS1M_SX_SY_NST_IJLi5ELi6ELi7EEEENST_IJLi8ELi9ELi10EEEEEEENST_IJLi5ELi6ELi7ELi8ELi9ELi10EEEElEEEEES34_NS_31BlockToCTileMap_M00_N00_M01_N01ILi128ELi128ES1V_Lb0EEENS1_30ComputePtrOffsetOfStridedBatchILi1ELi1ELi1EvEELb1ELb0EEEvPKT0_S3C_T1_PT2_T3_T4_T5_iT6_T7_T8_T9_T10_T11_
		.amdhsa_group_segment_fixed_size 32768
		.amdhsa_private_segment_fixed_size 0
		.amdhsa_kernarg_size 968
		.amdhsa_user_sgpr_count 2
		.amdhsa_user_sgpr_dispatch_ptr 0
		.amdhsa_user_sgpr_queue_ptr 0
		.amdhsa_user_sgpr_kernarg_segment_ptr 1
		.amdhsa_user_sgpr_dispatch_id 0
		.amdhsa_user_sgpr_private_segment_size 0
		.amdhsa_wavefront_size32 1
		.amdhsa_uses_dynamic_stack 0
		.amdhsa_enable_private_segment 0
		.amdhsa_system_sgpr_workgroup_id_x 1
		.amdhsa_system_sgpr_workgroup_id_y 0
		.amdhsa_system_sgpr_workgroup_id_z 0
		.amdhsa_system_sgpr_workgroup_info 0
		.amdhsa_system_vgpr_workitem_id 0
		.amdhsa_next_free_vgpr 203
		.amdhsa_next_free_sgpr 72
		.amdhsa_reserve_vcc 1
		.amdhsa_float_round_mode_32 0
		.amdhsa_float_round_mode_16_64 0
		.amdhsa_float_denorm_mode_32 3
		.amdhsa_float_denorm_mode_16_64 3
		.amdhsa_fp16_overflow 0
		.amdhsa_workgroup_processor_mode 1
		.amdhsa_memory_ordered 1
		.amdhsa_forward_progress 1
		.amdhsa_inst_pref_size 255
		.amdhsa_round_robin_scheduling 0
		.amdhsa_exception_fp_ieee_invalid_op 0
		.amdhsa_exception_fp_denorm_src 0
		.amdhsa_exception_fp_ieee_div_zero 0
		.amdhsa_exception_fp_ieee_overflow 0
		.amdhsa_exception_fp_ieee_underflow 0
		.amdhsa_exception_fp_ieee_inexact 0
		.amdhsa_exception_int_div_zero 0
	.end_amdhsa_kernel
	.section	.text._ZN2ck16tensor_operation6device12_GLOBAL__N_137kernel_grouped_conv_fwd_dl_multiple_dINS_32GridwiseGemmDlMultipleD_km_kn_mnILi256EaiNS_5TupleIJaEEEaNS0_12element_wise11PassThroughES8_NS7_7AddReluELNS_25InMemoryDataOperationEnumE0ENS_16TensorDescriptorINS5_IJNS_5EmbedINS5_IJiiiiEEESD_Lb0EEENS_11PassThroughIiEENS_3PadIiiiLb0EEESI_SG_SG_NSC_INS5_IJiiEEESJ_Lb0EEESK_SG_NS_23Merge_v2_magic_divisionINS5_IJiiiEEEEESN_NS_8RightPadIiiLb0EEESP_NS_7UnMergeISJ_Lb0EEESG_EEENS5_IJNS_8SequenceIJLi0EEEENST_IJLi1EEEENST_IJLi2EEEENST_IJLi3EEEENST_IJLi4EEEENST_IJLi5EEEENST_IJLi6EEEENST_IJLi7EEEENST_IJLi8EEEENST_IJLi9ELi11ELi13EEEENST_IJLi10ELi12ELi14EEEENST_IJLi15EEEENST_IJLi16EEEENST_IJLi18EEEENST_IJLi17EEEEEEENS5_IJNST_IJLi1ELi2ELi3ELi4EEEESZ_S10_S11_S12_NST_IJLi9EEEENST_IJLi10ELi11EEEENST_IJLi12ELi13EEEENST_IJLi14EEEES15_S16_S18_S17_NST_IJLi19ELi20EEEENST_IJLi21EEEEEEENST_IJLi19ELi21ELi20EEEElEENSB_INS5_IJSR_SP_SP_SR_SG_EEENS5_IJSU_SV_SW_SY_SX_EEENS5_IJNST_IJLi1ELi2EEEESX_SY_NST_IJLi5ELi6EEEES11_EEENST_IJLi5ELi7ELi6EEEElEENSB_INS5_IJSK_SP_SP_EEENS5_IJSU_SV_SW_EEENS5_IJS1M_SX_SY_EEENST_IJLi3ELi4EEEElEELi128ELi128ELi16ELi4ELi4ELi4ELi1ENST_IJLi8ELi2EEEES1W_NST_IJLi8ELi1ELi1ELi4EEEENST_IJLi2ELi1ELi128ELi1EEEENST_IJLi1ELi2ELi0ELi3EEEES1Z_NST_IJLi4ELi1ELi1ELi4EEEES1Z_NST_IJLi1ELi1ELi1ELi4EEEES1X_S1Y_S1Z_S1Z_S20_S1Z_S21_NST_IJLi0ELi1ELi2ELi3ELi4ELi5EEEELi5ELi4EEEaNS5_IJPKaEEEaS8_S8_S9_NSB_INS5_IJSE_SG_SI_SI_SG_SG_SK_SK_SG_SN_SN_SP_SP_SR_SG_SG_NSQ_INS5_IJiNS_17integral_constantIiLi128EEEEEELb0EEENSF_INS27_IiLi4EEEEEEEENS5_IJSU_SV_SW_SX_SY_SZ_S10_S11_S12_S13_S14_S15_S16_S17_S18_NST_IJLi19EEEES1G_NST_IJLi20EEEEEEENS5_IJS1A_SZ_S10_S11_S12_S1B_S1C_S1D_S1E_S15_S16_S18_S17_S1F_S1G_NST_IJLi22EEEENST_IJLi23ELi24EEEENST_IJLi25EEEEEEENST_IJLi22ELi23ELi24ELi25EEEElEENSB_INS5_IJSR_SP_SP_SR_SG_SG_S2A_S2C_EEENS5_IJSU_SV_SW_SY_SX_SZ_S11_S10_EEENS5_IJS1M_SX_SY_S1N_S11_S12_NST_IJLi9ELi10EEEENST_IJLi11EEEEEEENST_IJLi8ELi9ELi10ELi11EEEElEENS5_IJNSB_INS5_IJSK_SP_SP_NSQ_INS5_IJiNS27_IiLi2EEENS27_IiLi64EEEEEELb0EEES2X_EEENS5_IJSU_SV_SW_SX_SY_EEENS5_IJS1M_SX_SY_NST_IJLi5ELi6ELi7EEEENST_IJLi8ELi9ELi10EEEEEEENST_IJLi5ELi6ELi7ELi8ELi9ELi10EEEElEEEEES34_NS_31BlockToCTileMap_M00_N00_M01_N01ILi128ELi128ES1V_Lb0EEENS1_30ComputePtrOffsetOfStridedBatchILi1ELi1ELi1EvEELb1ELb0EEEvPKT0_S3C_T1_PT2_T3_T4_T5_iT6_T7_T8_T9_T10_T11_,"axG",@progbits,_ZN2ck16tensor_operation6device12_GLOBAL__N_137kernel_grouped_conv_fwd_dl_multiple_dINS_32GridwiseGemmDlMultipleD_km_kn_mnILi256EaiNS_5TupleIJaEEEaNS0_12element_wise11PassThroughES8_NS7_7AddReluELNS_25InMemoryDataOperationEnumE0ENS_16TensorDescriptorINS5_IJNS_5EmbedINS5_IJiiiiEEESD_Lb0EEENS_11PassThroughIiEENS_3PadIiiiLb0EEESI_SG_SG_NSC_INS5_IJiiEEESJ_Lb0EEESK_SG_NS_23Merge_v2_magic_divisionINS5_IJiiiEEEEESN_NS_8RightPadIiiLb0EEESP_NS_7UnMergeISJ_Lb0EEESG_EEENS5_IJNS_8SequenceIJLi0EEEENST_IJLi1EEEENST_IJLi2EEEENST_IJLi3EEEENST_IJLi4EEEENST_IJLi5EEEENST_IJLi6EEEENST_IJLi7EEEENST_IJLi8EEEENST_IJLi9ELi11ELi13EEEENST_IJLi10ELi12ELi14EEEENST_IJLi15EEEENST_IJLi16EEEENST_IJLi18EEEENST_IJLi17EEEEEEENS5_IJNST_IJLi1ELi2ELi3ELi4EEEESZ_S10_S11_S12_NST_IJLi9EEEENST_IJLi10ELi11EEEENST_IJLi12ELi13EEEENST_IJLi14EEEES15_S16_S18_S17_NST_IJLi19ELi20EEEENST_IJLi21EEEEEEENST_IJLi19ELi21ELi20EEEElEENSB_INS5_IJSR_SP_SP_SR_SG_EEENS5_IJSU_SV_SW_SY_SX_EEENS5_IJNST_IJLi1ELi2EEEESX_SY_NST_IJLi5ELi6EEEES11_EEENST_IJLi5ELi7ELi6EEEElEENSB_INS5_IJSK_SP_SP_EEENS5_IJSU_SV_SW_EEENS5_IJS1M_SX_SY_EEENST_IJLi3ELi4EEEElEELi128ELi128ELi16ELi4ELi4ELi4ELi1ENST_IJLi8ELi2EEEES1W_NST_IJLi8ELi1ELi1ELi4EEEENST_IJLi2ELi1ELi128ELi1EEEENST_IJLi1ELi2ELi0ELi3EEEES1Z_NST_IJLi4ELi1ELi1ELi4EEEES1Z_NST_IJLi1ELi1ELi1ELi4EEEES1X_S1Y_S1Z_S1Z_S20_S1Z_S21_NST_IJLi0ELi1ELi2ELi3ELi4ELi5EEEELi5ELi4EEEaNS5_IJPKaEEEaS8_S8_S9_NSB_INS5_IJSE_SG_SI_SI_SG_SG_SK_SK_SG_SN_SN_SP_SP_SR_SG_SG_NSQ_INS5_IJiNS_17integral_constantIiLi128EEEEEELb0EEENSF_INS27_IiLi4EEEEEEEENS5_IJSU_SV_SW_SX_SY_SZ_S10_S11_S12_S13_S14_S15_S16_S17_S18_NST_IJLi19EEEES1G_NST_IJLi20EEEEEEENS5_IJS1A_SZ_S10_S11_S12_S1B_S1C_S1D_S1E_S15_S16_S18_S17_S1F_S1G_NST_IJLi22EEEENST_IJLi23ELi24EEEENST_IJLi25EEEEEEENST_IJLi22ELi23ELi24ELi25EEEElEENSB_INS5_IJSR_SP_SP_SR_SG_SG_S2A_S2C_EEENS5_IJSU_SV_SW_SY_SX_SZ_S11_S10_EEENS5_IJS1M_SX_SY_S1N_S11_S12_NST_IJLi9ELi10EEEENST_IJLi11EEEEEEENST_IJLi8ELi9ELi10ELi11EEEElEENS5_IJNSB_INS5_IJSK_SP_SP_NSQ_INS5_IJiNS27_IiLi2EEENS27_IiLi64EEEEEELb0EEES2X_EEENS5_IJSU_SV_SW_SX_SY_EEENS5_IJS1M_SX_SY_NST_IJLi5ELi6ELi7EEEENST_IJLi8ELi9ELi10EEEEEEENST_IJLi5ELi6ELi7ELi8ELi9ELi10EEEElEEEEES34_NS_31BlockToCTileMap_M00_N00_M01_N01ILi128ELi128ES1V_Lb0EEENS1_30ComputePtrOffsetOfStridedBatchILi1ELi1ELi1EvEELb1ELb0EEEvPKT0_S3C_T1_PT2_T3_T4_T5_iT6_T7_T8_T9_T10_T11_,comdat
.Lfunc_end6:
	.size	_ZN2ck16tensor_operation6device12_GLOBAL__N_137kernel_grouped_conv_fwd_dl_multiple_dINS_32GridwiseGemmDlMultipleD_km_kn_mnILi256EaiNS_5TupleIJaEEEaNS0_12element_wise11PassThroughES8_NS7_7AddReluELNS_25InMemoryDataOperationEnumE0ENS_16TensorDescriptorINS5_IJNS_5EmbedINS5_IJiiiiEEESD_Lb0EEENS_11PassThroughIiEENS_3PadIiiiLb0EEESI_SG_SG_NSC_INS5_IJiiEEESJ_Lb0EEESK_SG_NS_23Merge_v2_magic_divisionINS5_IJiiiEEEEESN_NS_8RightPadIiiLb0EEESP_NS_7UnMergeISJ_Lb0EEESG_EEENS5_IJNS_8SequenceIJLi0EEEENST_IJLi1EEEENST_IJLi2EEEENST_IJLi3EEEENST_IJLi4EEEENST_IJLi5EEEENST_IJLi6EEEENST_IJLi7EEEENST_IJLi8EEEENST_IJLi9ELi11ELi13EEEENST_IJLi10ELi12ELi14EEEENST_IJLi15EEEENST_IJLi16EEEENST_IJLi18EEEENST_IJLi17EEEEEEENS5_IJNST_IJLi1ELi2ELi3ELi4EEEESZ_S10_S11_S12_NST_IJLi9EEEENST_IJLi10ELi11EEEENST_IJLi12ELi13EEEENST_IJLi14EEEES15_S16_S18_S17_NST_IJLi19ELi20EEEENST_IJLi21EEEEEEENST_IJLi19ELi21ELi20EEEElEENSB_INS5_IJSR_SP_SP_SR_SG_EEENS5_IJSU_SV_SW_SY_SX_EEENS5_IJNST_IJLi1ELi2EEEESX_SY_NST_IJLi5ELi6EEEES11_EEENST_IJLi5ELi7ELi6EEEElEENSB_INS5_IJSK_SP_SP_EEENS5_IJSU_SV_SW_EEENS5_IJS1M_SX_SY_EEENST_IJLi3ELi4EEEElEELi128ELi128ELi16ELi4ELi4ELi4ELi1ENST_IJLi8ELi2EEEES1W_NST_IJLi8ELi1ELi1ELi4EEEENST_IJLi2ELi1ELi128ELi1EEEENST_IJLi1ELi2ELi0ELi3EEEES1Z_NST_IJLi4ELi1ELi1ELi4EEEES1Z_NST_IJLi1ELi1ELi1ELi4EEEES1X_S1Y_S1Z_S1Z_S20_S1Z_S21_NST_IJLi0ELi1ELi2ELi3ELi4ELi5EEEELi5ELi4EEEaNS5_IJPKaEEEaS8_S8_S9_NSB_INS5_IJSE_SG_SI_SI_SG_SG_SK_SK_SG_SN_SN_SP_SP_SR_SG_SG_NSQ_INS5_IJiNS_17integral_constantIiLi128EEEEEELb0EEENSF_INS27_IiLi4EEEEEEEENS5_IJSU_SV_SW_SX_SY_SZ_S10_S11_S12_S13_S14_S15_S16_S17_S18_NST_IJLi19EEEES1G_NST_IJLi20EEEEEEENS5_IJS1A_SZ_S10_S11_S12_S1B_S1C_S1D_S1E_S15_S16_S18_S17_S1F_S1G_NST_IJLi22EEEENST_IJLi23ELi24EEEENST_IJLi25EEEEEEENST_IJLi22ELi23ELi24ELi25EEEElEENSB_INS5_IJSR_SP_SP_SR_SG_SG_S2A_S2C_EEENS5_IJSU_SV_SW_SY_SX_SZ_S11_S10_EEENS5_IJS1M_SX_SY_S1N_S11_S12_NST_IJLi9ELi10EEEENST_IJLi11EEEEEEENST_IJLi8ELi9ELi10ELi11EEEElEENS5_IJNSB_INS5_IJSK_SP_SP_NSQ_INS5_IJiNS27_IiLi2EEENS27_IiLi64EEEEEELb0EEES2X_EEENS5_IJSU_SV_SW_SX_SY_EEENS5_IJS1M_SX_SY_NST_IJLi5ELi6ELi7EEEENST_IJLi8ELi9ELi10EEEEEEENST_IJLi5ELi6ELi7ELi8ELi9ELi10EEEElEEEEES34_NS_31BlockToCTileMap_M00_N00_M01_N01ILi128ELi128ES1V_Lb0EEENS1_30ComputePtrOffsetOfStridedBatchILi1ELi1ELi1EvEELb1ELb0EEEvPKT0_S3C_T1_PT2_T3_T4_T5_iT6_T7_T8_T9_T10_T11_, .Lfunc_end6-_ZN2ck16tensor_operation6device12_GLOBAL__N_137kernel_grouped_conv_fwd_dl_multiple_dINS_32GridwiseGemmDlMultipleD_km_kn_mnILi256EaiNS_5TupleIJaEEEaNS0_12element_wise11PassThroughES8_NS7_7AddReluELNS_25InMemoryDataOperationEnumE0ENS_16TensorDescriptorINS5_IJNS_5EmbedINS5_IJiiiiEEESD_Lb0EEENS_11PassThroughIiEENS_3PadIiiiLb0EEESI_SG_SG_NSC_INS5_IJiiEEESJ_Lb0EEESK_SG_NS_23Merge_v2_magic_divisionINS5_IJiiiEEEEESN_NS_8RightPadIiiLb0EEESP_NS_7UnMergeISJ_Lb0EEESG_EEENS5_IJNS_8SequenceIJLi0EEEENST_IJLi1EEEENST_IJLi2EEEENST_IJLi3EEEENST_IJLi4EEEENST_IJLi5EEEENST_IJLi6EEEENST_IJLi7EEEENST_IJLi8EEEENST_IJLi9ELi11ELi13EEEENST_IJLi10ELi12ELi14EEEENST_IJLi15EEEENST_IJLi16EEEENST_IJLi18EEEENST_IJLi17EEEEEEENS5_IJNST_IJLi1ELi2ELi3ELi4EEEESZ_S10_S11_S12_NST_IJLi9EEEENST_IJLi10ELi11EEEENST_IJLi12ELi13EEEENST_IJLi14EEEES15_S16_S18_S17_NST_IJLi19ELi20EEEENST_IJLi21EEEEEEENST_IJLi19ELi21ELi20EEEElEENSB_INS5_IJSR_SP_SP_SR_SG_EEENS5_IJSU_SV_SW_SY_SX_EEENS5_IJNST_IJLi1ELi2EEEESX_SY_NST_IJLi5ELi6EEEES11_EEENST_IJLi5ELi7ELi6EEEElEENSB_INS5_IJSK_SP_SP_EEENS5_IJSU_SV_SW_EEENS5_IJS1M_SX_SY_EEENST_IJLi3ELi4EEEElEELi128ELi128ELi16ELi4ELi4ELi4ELi1ENST_IJLi8ELi2EEEES1W_NST_IJLi8ELi1ELi1ELi4EEEENST_IJLi2ELi1ELi128ELi1EEEENST_IJLi1ELi2ELi0ELi3EEEES1Z_NST_IJLi4ELi1ELi1ELi4EEEES1Z_NST_IJLi1ELi1ELi1ELi4EEEES1X_S1Y_S1Z_S1Z_S20_S1Z_S21_NST_IJLi0ELi1ELi2ELi3ELi4ELi5EEEELi5ELi4EEEaNS5_IJPKaEEEaS8_S8_S9_NSB_INS5_IJSE_SG_SI_SI_SG_SG_SK_SK_SG_SN_SN_SP_SP_SR_SG_SG_NSQ_INS5_IJiNS_17integral_constantIiLi128EEEEEELb0EEENSF_INS27_IiLi4EEEEEEEENS5_IJSU_SV_SW_SX_SY_SZ_S10_S11_S12_S13_S14_S15_S16_S17_S18_NST_IJLi19EEEES1G_NST_IJLi20EEEEEEENS5_IJS1A_SZ_S10_S11_S12_S1B_S1C_S1D_S1E_S15_S16_S18_S17_S1F_S1G_NST_IJLi22EEEENST_IJLi23ELi24EEEENST_IJLi25EEEEEEENST_IJLi22ELi23ELi24ELi25EEEElEENSB_INS5_IJSR_SP_SP_SR_SG_SG_S2A_S2C_EEENS5_IJSU_SV_SW_SY_SX_SZ_S11_S10_EEENS5_IJS1M_SX_SY_S1N_S11_S12_NST_IJLi9ELi10EEEENST_IJLi11EEEEEEENST_IJLi8ELi9ELi10ELi11EEEElEENS5_IJNSB_INS5_IJSK_SP_SP_NSQ_INS5_IJiNS27_IiLi2EEENS27_IiLi64EEEEEELb0EEES2X_EEENS5_IJSU_SV_SW_SX_SY_EEENS5_IJS1M_SX_SY_NST_IJLi5ELi6ELi7EEEENST_IJLi8ELi9ELi10EEEEEEENST_IJLi5ELi6ELi7ELi8ELi9ELi10EEEElEEEEES34_NS_31BlockToCTileMap_M00_N00_M01_N01ILi128ELi128ES1V_Lb0EEENS1_30ComputePtrOffsetOfStridedBatchILi1ELi1ELi1EvEELb1ELb0EEEvPKT0_S3C_T1_PT2_T3_T4_T5_iT6_T7_T8_T9_T10_T11_
                                        ; -- End function
	.set _ZN2ck16tensor_operation6device12_GLOBAL__N_137kernel_grouped_conv_fwd_dl_multiple_dINS_32GridwiseGemmDlMultipleD_km_kn_mnILi256EaiNS_5TupleIJaEEEaNS0_12element_wise11PassThroughES8_NS7_7AddReluELNS_25InMemoryDataOperationEnumE0ENS_16TensorDescriptorINS5_IJNS_5EmbedINS5_IJiiiiEEESD_Lb0EEENS_11PassThroughIiEENS_3PadIiiiLb0EEESI_SG_SG_NSC_INS5_IJiiEEESJ_Lb0EEESK_SG_NS_23Merge_v2_magic_divisionINS5_IJiiiEEEEESN_NS_8RightPadIiiLb0EEESP_NS_7UnMergeISJ_Lb0EEESG_EEENS5_IJNS_8SequenceIJLi0EEEENST_IJLi1EEEENST_IJLi2EEEENST_IJLi3EEEENST_IJLi4EEEENST_IJLi5EEEENST_IJLi6EEEENST_IJLi7EEEENST_IJLi8EEEENST_IJLi9ELi11ELi13EEEENST_IJLi10ELi12ELi14EEEENST_IJLi15EEEENST_IJLi16EEEENST_IJLi18EEEENST_IJLi17EEEEEEENS5_IJNST_IJLi1ELi2ELi3ELi4EEEESZ_S10_S11_S12_NST_IJLi9EEEENST_IJLi10ELi11EEEENST_IJLi12ELi13EEEENST_IJLi14EEEES15_S16_S18_S17_NST_IJLi19ELi20EEEENST_IJLi21EEEEEEENST_IJLi19ELi21ELi20EEEElEENSB_INS5_IJSR_SP_SP_SR_SG_EEENS5_IJSU_SV_SW_SY_SX_EEENS5_IJNST_IJLi1ELi2EEEESX_SY_NST_IJLi5ELi6EEEES11_EEENST_IJLi5ELi7ELi6EEEElEENSB_INS5_IJSK_SP_SP_EEENS5_IJSU_SV_SW_EEENS5_IJS1M_SX_SY_EEENST_IJLi3ELi4EEEElEELi128ELi128ELi16ELi4ELi4ELi4ELi1ENST_IJLi8ELi2EEEES1W_NST_IJLi8ELi1ELi1ELi4EEEENST_IJLi2ELi1ELi128ELi1EEEENST_IJLi1ELi2ELi0ELi3EEEES1Z_NST_IJLi4ELi1ELi1ELi4EEEES1Z_NST_IJLi1ELi1ELi1ELi4EEEES1X_S1Y_S1Z_S1Z_S20_S1Z_S21_NST_IJLi0ELi1ELi2ELi3ELi4ELi5EEEELi5ELi4EEEaNS5_IJPKaEEEaS8_S8_S9_NSB_INS5_IJSE_SG_SI_SI_SG_SG_SK_SK_SG_SN_SN_SP_SP_SR_SG_SG_NSQ_INS5_IJiNS_17integral_constantIiLi128EEEEEELb0EEENSF_INS27_IiLi4EEEEEEEENS5_IJSU_SV_SW_SX_SY_SZ_S10_S11_S12_S13_S14_S15_S16_S17_S18_NST_IJLi19EEEES1G_NST_IJLi20EEEEEEENS5_IJS1A_SZ_S10_S11_S12_S1B_S1C_S1D_S1E_S15_S16_S18_S17_S1F_S1G_NST_IJLi22EEEENST_IJLi23ELi24EEEENST_IJLi25EEEEEEENST_IJLi22ELi23ELi24ELi25EEEElEENSB_INS5_IJSR_SP_SP_SR_SG_SG_S2A_S2C_EEENS5_IJSU_SV_SW_SY_SX_SZ_S11_S10_EEENS5_IJS1M_SX_SY_S1N_S11_S12_NST_IJLi9ELi10EEEENST_IJLi11EEEEEEENST_IJLi8ELi9ELi10ELi11EEEElEENS5_IJNSB_INS5_IJSK_SP_SP_NSQ_INS5_IJiNS27_IiLi2EEENS27_IiLi64EEEEEELb0EEES2X_EEENS5_IJSU_SV_SW_SX_SY_EEENS5_IJS1M_SX_SY_NST_IJLi5ELi6ELi7EEEENST_IJLi8ELi9ELi10EEEEEEENST_IJLi5ELi6ELi7ELi8ELi9ELi10EEEElEEEEES34_NS_31BlockToCTileMap_M00_N00_M01_N01ILi128ELi128ES1V_Lb0EEENS1_30ComputePtrOffsetOfStridedBatchILi1ELi1ELi1EvEELb1ELb0EEEvPKT0_S3C_T1_PT2_T3_T4_T5_iT6_T7_T8_T9_T10_T11_.num_vgpr, 203
	.set _ZN2ck16tensor_operation6device12_GLOBAL__N_137kernel_grouped_conv_fwd_dl_multiple_dINS_32GridwiseGemmDlMultipleD_km_kn_mnILi256EaiNS_5TupleIJaEEEaNS0_12element_wise11PassThroughES8_NS7_7AddReluELNS_25InMemoryDataOperationEnumE0ENS_16TensorDescriptorINS5_IJNS_5EmbedINS5_IJiiiiEEESD_Lb0EEENS_11PassThroughIiEENS_3PadIiiiLb0EEESI_SG_SG_NSC_INS5_IJiiEEESJ_Lb0EEESK_SG_NS_23Merge_v2_magic_divisionINS5_IJiiiEEEEESN_NS_8RightPadIiiLb0EEESP_NS_7UnMergeISJ_Lb0EEESG_EEENS5_IJNS_8SequenceIJLi0EEEENST_IJLi1EEEENST_IJLi2EEEENST_IJLi3EEEENST_IJLi4EEEENST_IJLi5EEEENST_IJLi6EEEENST_IJLi7EEEENST_IJLi8EEEENST_IJLi9ELi11ELi13EEEENST_IJLi10ELi12ELi14EEEENST_IJLi15EEEENST_IJLi16EEEENST_IJLi18EEEENST_IJLi17EEEEEEENS5_IJNST_IJLi1ELi2ELi3ELi4EEEESZ_S10_S11_S12_NST_IJLi9EEEENST_IJLi10ELi11EEEENST_IJLi12ELi13EEEENST_IJLi14EEEES15_S16_S18_S17_NST_IJLi19ELi20EEEENST_IJLi21EEEEEEENST_IJLi19ELi21ELi20EEEElEENSB_INS5_IJSR_SP_SP_SR_SG_EEENS5_IJSU_SV_SW_SY_SX_EEENS5_IJNST_IJLi1ELi2EEEESX_SY_NST_IJLi5ELi6EEEES11_EEENST_IJLi5ELi7ELi6EEEElEENSB_INS5_IJSK_SP_SP_EEENS5_IJSU_SV_SW_EEENS5_IJS1M_SX_SY_EEENST_IJLi3ELi4EEEElEELi128ELi128ELi16ELi4ELi4ELi4ELi1ENST_IJLi8ELi2EEEES1W_NST_IJLi8ELi1ELi1ELi4EEEENST_IJLi2ELi1ELi128ELi1EEEENST_IJLi1ELi2ELi0ELi3EEEES1Z_NST_IJLi4ELi1ELi1ELi4EEEES1Z_NST_IJLi1ELi1ELi1ELi4EEEES1X_S1Y_S1Z_S1Z_S20_S1Z_S21_NST_IJLi0ELi1ELi2ELi3ELi4ELi5EEEELi5ELi4EEEaNS5_IJPKaEEEaS8_S8_S9_NSB_INS5_IJSE_SG_SI_SI_SG_SG_SK_SK_SG_SN_SN_SP_SP_SR_SG_SG_NSQ_INS5_IJiNS_17integral_constantIiLi128EEEEEELb0EEENSF_INS27_IiLi4EEEEEEEENS5_IJSU_SV_SW_SX_SY_SZ_S10_S11_S12_S13_S14_S15_S16_S17_S18_NST_IJLi19EEEES1G_NST_IJLi20EEEEEEENS5_IJS1A_SZ_S10_S11_S12_S1B_S1C_S1D_S1E_S15_S16_S18_S17_S1F_S1G_NST_IJLi22EEEENST_IJLi23ELi24EEEENST_IJLi25EEEEEEENST_IJLi22ELi23ELi24ELi25EEEElEENSB_INS5_IJSR_SP_SP_SR_SG_SG_S2A_S2C_EEENS5_IJSU_SV_SW_SY_SX_SZ_S11_S10_EEENS5_IJS1M_SX_SY_S1N_S11_S12_NST_IJLi9ELi10EEEENST_IJLi11EEEEEEENST_IJLi8ELi9ELi10ELi11EEEElEENS5_IJNSB_INS5_IJSK_SP_SP_NSQ_INS5_IJiNS27_IiLi2EEENS27_IiLi64EEEEEELb0EEES2X_EEENS5_IJSU_SV_SW_SX_SY_EEENS5_IJS1M_SX_SY_NST_IJLi5ELi6ELi7EEEENST_IJLi8ELi9ELi10EEEEEEENST_IJLi5ELi6ELi7ELi8ELi9ELi10EEEElEEEEES34_NS_31BlockToCTileMap_M00_N00_M01_N01ILi128ELi128ES1V_Lb0EEENS1_30ComputePtrOffsetOfStridedBatchILi1ELi1ELi1EvEELb1ELb0EEEvPKT0_S3C_T1_PT2_T3_T4_T5_iT6_T7_T8_T9_T10_T11_.num_agpr, 0
	.set _ZN2ck16tensor_operation6device12_GLOBAL__N_137kernel_grouped_conv_fwd_dl_multiple_dINS_32GridwiseGemmDlMultipleD_km_kn_mnILi256EaiNS_5TupleIJaEEEaNS0_12element_wise11PassThroughES8_NS7_7AddReluELNS_25InMemoryDataOperationEnumE0ENS_16TensorDescriptorINS5_IJNS_5EmbedINS5_IJiiiiEEESD_Lb0EEENS_11PassThroughIiEENS_3PadIiiiLb0EEESI_SG_SG_NSC_INS5_IJiiEEESJ_Lb0EEESK_SG_NS_23Merge_v2_magic_divisionINS5_IJiiiEEEEESN_NS_8RightPadIiiLb0EEESP_NS_7UnMergeISJ_Lb0EEESG_EEENS5_IJNS_8SequenceIJLi0EEEENST_IJLi1EEEENST_IJLi2EEEENST_IJLi3EEEENST_IJLi4EEEENST_IJLi5EEEENST_IJLi6EEEENST_IJLi7EEEENST_IJLi8EEEENST_IJLi9ELi11ELi13EEEENST_IJLi10ELi12ELi14EEEENST_IJLi15EEEENST_IJLi16EEEENST_IJLi18EEEENST_IJLi17EEEEEEENS5_IJNST_IJLi1ELi2ELi3ELi4EEEESZ_S10_S11_S12_NST_IJLi9EEEENST_IJLi10ELi11EEEENST_IJLi12ELi13EEEENST_IJLi14EEEES15_S16_S18_S17_NST_IJLi19ELi20EEEENST_IJLi21EEEEEEENST_IJLi19ELi21ELi20EEEElEENSB_INS5_IJSR_SP_SP_SR_SG_EEENS5_IJSU_SV_SW_SY_SX_EEENS5_IJNST_IJLi1ELi2EEEESX_SY_NST_IJLi5ELi6EEEES11_EEENST_IJLi5ELi7ELi6EEEElEENSB_INS5_IJSK_SP_SP_EEENS5_IJSU_SV_SW_EEENS5_IJS1M_SX_SY_EEENST_IJLi3ELi4EEEElEELi128ELi128ELi16ELi4ELi4ELi4ELi1ENST_IJLi8ELi2EEEES1W_NST_IJLi8ELi1ELi1ELi4EEEENST_IJLi2ELi1ELi128ELi1EEEENST_IJLi1ELi2ELi0ELi3EEEES1Z_NST_IJLi4ELi1ELi1ELi4EEEES1Z_NST_IJLi1ELi1ELi1ELi4EEEES1X_S1Y_S1Z_S1Z_S20_S1Z_S21_NST_IJLi0ELi1ELi2ELi3ELi4ELi5EEEELi5ELi4EEEaNS5_IJPKaEEEaS8_S8_S9_NSB_INS5_IJSE_SG_SI_SI_SG_SG_SK_SK_SG_SN_SN_SP_SP_SR_SG_SG_NSQ_INS5_IJiNS_17integral_constantIiLi128EEEEEELb0EEENSF_INS27_IiLi4EEEEEEEENS5_IJSU_SV_SW_SX_SY_SZ_S10_S11_S12_S13_S14_S15_S16_S17_S18_NST_IJLi19EEEES1G_NST_IJLi20EEEEEEENS5_IJS1A_SZ_S10_S11_S12_S1B_S1C_S1D_S1E_S15_S16_S18_S17_S1F_S1G_NST_IJLi22EEEENST_IJLi23ELi24EEEENST_IJLi25EEEEEEENST_IJLi22ELi23ELi24ELi25EEEElEENSB_INS5_IJSR_SP_SP_SR_SG_SG_S2A_S2C_EEENS5_IJSU_SV_SW_SY_SX_SZ_S11_S10_EEENS5_IJS1M_SX_SY_S1N_S11_S12_NST_IJLi9ELi10EEEENST_IJLi11EEEEEEENST_IJLi8ELi9ELi10ELi11EEEElEENS5_IJNSB_INS5_IJSK_SP_SP_NSQ_INS5_IJiNS27_IiLi2EEENS27_IiLi64EEEEEELb0EEES2X_EEENS5_IJSU_SV_SW_SX_SY_EEENS5_IJS1M_SX_SY_NST_IJLi5ELi6ELi7EEEENST_IJLi8ELi9ELi10EEEEEEENST_IJLi5ELi6ELi7ELi8ELi9ELi10EEEElEEEEES34_NS_31BlockToCTileMap_M00_N00_M01_N01ILi128ELi128ES1V_Lb0EEENS1_30ComputePtrOffsetOfStridedBatchILi1ELi1ELi1EvEELb1ELb0EEEvPKT0_S3C_T1_PT2_T3_T4_T5_iT6_T7_T8_T9_T10_T11_.numbered_sgpr, 72
	.set _ZN2ck16tensor_operation6device12_GLOBAL__N_137kernel_grouped_conv_fwd_dl_multiple_dINS_32GridwiseGemmDlMultipleD_km_kn_mnILi256EaiNS_5TupleIJaEEEaNS0_12element_wise11PassThroughES8_NS7_7AddReluELNS_25InMemoryDataOperationEnumE0ENS_16TensorDescriptorINS5_IJNS_5EmbedINS5_IJiiiiEEESD_Lb0EEENS_11PassThroughIiEENS_3PadIiiiLb0EEESI_SG_SG_NSC_INS5_IJiiEEESJ_Lb0EEESK_SG_NS_23Merge_v2_magic_divisionINS5_IJiiiEEEEESN_NS_8RightPadIiiLb0EEESP_NS_7UnMergeISJ_Lb0EEESG_EEENS5_IJNS_8SequenceIJLi0EEEENST_IJLi1EEEENST_IJLi2EEEENST_IJLi3EEEENST_IJLi4EEEENST_IJLi5EEEENST_IJLi6EEEENST_IJLi7EEEENST_IJLi8EEEENST_IJLi9ELi11ELi13EEEENST_IJLi10ELi12ELi14EEEENST_IJLi15EEEENST_IJLi16EEEENST_IJLi18EEEENST_IJLi17EEEEEEENS5_IJNST_IJLi1ELi2ELi3ELi4EEEESZ_S10_S11_S12_NST_IJLi9EEEENST_IJLi10ELi11EEEENST_IJLi12ELi13EEEENST_IJLi14EEEES15_S16_S18_S17_NST_IJLi19ELi20EEEENST_IJLi21EEEEEEENST_IJLi19ELi21ELi20EEEElEENSB_INS5_IJSR_SP_SP_SR_SG_EEENS5_IJSU_SV_SW_SY_SX_EEENS5_IJNST_IJLi1ELi2EEEESX_SY_NST_IJLi5ELi6EEEES11_EEENST_IJLi5ELi7ELi6EEEElEENSB_INS5_IJSK_SP_SP_EEENS5_IJSU_SV_SW_EEENS5_IJS1M_SX_SY_EEENST_IJLi3ELi4EEEElEELi128ELi128ELi16ELi4ELi4ELi4ELi1ENST_IJLi8ELi2EEEES1W_NST_IJLi8ELi1ELi1ELi4EEEENST_IJLi2ELi1ELi128ELi1EEEENST_IJLi1ELi2ELi0ELi3EEEES1Z_NST_IJLi4ELi1ELi1ELi4EEEES1Z_NST_IJLi1ELi1ELi1ELi4EEEES1X_S1Y_S1Z_S1Z_S20_S1Z_S21_NST_IJLi0ELi1ELi2ELi3ELi4ELi5EEEELi5ELi4EEEaNS5_IJPKaEEEaS8_S8_S9_NSB_INS5_IJSE_SG_SI_SI_SG_SG_SK_SK_SG_SN_SN_SP_SP_SR_SG_SG_NSQ_INS5_IJiNS_17integral_constantIiLi128EEEEEELb0EEENSF_INS27_IiLi4EEEEEEEENS5_IJSU_SV_SW_SX_SY_SZ_S10_S11_S12_S13_S14_S15_S16_S17_S18_NST_IJLi19EEEES1G_NST_IJLi20EEEEEEENS5_IJS1A_SZ_S10_S11_S12_S1B_S1C_S1D_S1E_S15_S16_S18_S17_S1F_S1G_NST_IJLi22EEEENST_IJLi23ELi24EEEENST_IJLi25EEEEEEENST_IJLi22ELi23ELi24ELi25EEEElEENSB_INS5_IJSR_SP_SP_SR_SG_SG_S2A_S2C_EEENS5_IJSU_SV_SW_SY_SX_SZ_S11_S10_EEENS5_IJS1M_SX_SY_S1N_S11_S12_NST_IJLi9ELi10EEEENST_IJLi11EEEEEEENST_IJLi8ELi9ELi10ELi11EEEElEENS5_IJNSB_INS5_IJSK_SP_SP_NSQ_INS5_IJiNS27_IiLi2EEENS27_IiLi64EEEEEELb0EEES2X_EEENS5_IJSU_SV_SW_SX_SY_EEENS5_IJS1M_SX_SY_NST_IJLi5ELi6ELi7EEEENST_IJLi8ELi9ELi10EEEEEEENST_IJLi5ELi6ELi7ELi8ELi9ELi10EEEElEEEEES34_NS_31BlockToCTileMap_M00_N00_M01_N01ILi128ELi128ES1V_Lb0EEENS1_30ComputePtrOffsetOfStridedBatchILi1ELi1ELi1EvEELb1ELb0EEEvPKT0_S3C_T1_PT2_T3_T4_T5_iT6_T7_T8_T9_T10_T11_.num_named_barrier, 0
	.set _ZN2ck16tensor_operation6device12_GLOBAL__N_137kernel_grouped_conv_fwd_dl_multiple_dINS_32GridwiseGemmDlMultipleD_km_kn_mnILi256EaiNS_5TupleIJaEEEaNS0_12element_wise11PassThroughES8_NS7_7AddReluELNS_25InMemoryDataOperationEnumE0ENS_16TensorDescriptorINS5_IJNS_5EmbedINS5_IJiiiiEEESD_Lb0EEENS_11PassThroughIiEENS_3PadIiiiLb0EEESI_SG_SG_NSC_INS5_IJiiEEESJ_Lb0EEESK_SG_NS_23Merge_v2_magic_divisionINS5_IJiiiEEEEESN_NS_8RightPadIiiLb0EEESP_NS_7UnMergeISJ_Lb0EEESG_EEENS5_IJNS_8SequenceIJLi0EEEENST_IJLi1EEEENST_IJLi2EEEENST_IJLi3EEEENST_IJLi4EEEENST_IJLi5EEEENST_IJLi6EEEENST_IJLi7EEEENST_IJLi8EEEENST_IJLi9ELi11ELi13EEEENST_IJLi10ELi12ELi14EEEENST_IJLi15EEEENST_IJLi16EEEENST_IJLi18EEEENST_IJLi17EEEEEEENS5_IJNST_IJLi1ELi2ELi3ELi4EEEESZ_S10_S11_S12_NST_IJLi9EEEENST_IJLi10ELi11EEEENST_IJLi12ELi13EEEENST_IJLi14EEEES15_S16_S18_S17_NST_IJLi19ELi20EEEENST_IJLi21EEEEEEENST_IJLi19ELi21ELi20EEEElEENSB_INS5_IJSR_SP_SP_SR_SG_EEENS5_IJSU_SV_SW_SY_SX_EEENS5_IJNST_IJLi1ELi2EEEESX_SY_NST_IJLi5ELi6EEEES11_EEENST_IJLi5ELi7ELi6EEEElEENSB_INS5_IJSK_SP_SP_EEENS5_IJSU_SV_SW_EEENS5_IJS1M_SX_SY_EEENST_IJLi3ELi4EEEElEELi128ELi128ELi16ELi4ELi4ELi4ELi1ENST_IJLi8ELi2EEEES1W_NST_IJLi8ELi1ELi1ELi4EEEENST_IJLi2ELi1ELi128ELi1EEEENST_IJLi1ELi2ELi0ELi3EEEES1Z_NST_IJLi4ELi1ELi1ELi4EEEES1Z_NST_IJLi1ELi1ELi1ELi4EEEES1X_S1Y_S1Z_S1Z_S20_S1Z_S21_NST_IJLi0ELi1ELi2ELi3ELi4ELi5EEEELi5ELi4EEEaNS5_IJPKaEEEaS8_S8_S9_NSB_INS5_IJSE_SG_SI_SI_SG_SG_SK_SK_SG_SN_SN_SP_SP_SR_SG_SG_NSQ_INS5_IJiNS_17integral_constantIiLi128EEEEEELb0EEENSF_INS27_IiLi4EEEEEEEENS5_IJSU_SV_SW_SX_SY_SZ_S10_S11_S12_S13_S14_S15_S16_S17_S18_NST_IJLi19EEEES1G_NST_IJLi20EEEEEEENS5_IJS1A_SZ_S10_S11_S12_S1B_S1C_S1D_S1E_S15_S16_S18_S17_S1F_S1G_NST_IJLi22EEEENST_IJLi23ELi24EEEENST_IJLi25EEEEEEENST_IJLi22ELi23ELi24ELi25EEEElEENSB_INS5_IJSR_SP_SP_SR_SG_SG_S2A_S2C_EEENS5_IJSU_SV_SW_SY_SX_SZ_S11_S10_EEENS5_IJS1M_SX_SY_S1N_S11_S12_NST_IJLi9ELi10EEEENST_IJLi11EEEEEEENST_IJLi8ELi9ELi10ELi11EEEElEENS5_IJNSB_INS5_IJSK_SP_SP_NSQ_INS5_IJiNS27_IiLi2EEENS27_IiLi64EEEEEELb0EEES2X_EEENS5_IJSU_SV_SW_SX_SY_EEENS5_IJS1M_SX_SY_NST_IJLi5ELi6ELi7EEEENST_IJLi8ELi9ELi10EEEEEEENST_IJLi5ELi6ELi7ELi8ELi9ELi10EEEElEEEEES34_NS_31BlockToCTileMap_M00_N00_M01_N01ILi128ELi128ES1V_Lb0EEENS1_30ComputePtrOffsetOfStridedBatchILi1ELi1ELi1EvEELb1ELb0EEEvPKT0_S3C_T1_PT2_T3_T4_T5_iT6_T7_T8_T9_T10_T11_.private_seg_size, 0
	.set _ZN2ck16tensor_operation6device12_GLOBAL__N_137kernel_grouped_conv_fwd_dl_multiple_dINS_32GridwiseGemmDlMultipleD_km_kn_mnILi256EaiNS_5TupleIJaEEEaNS0_12element_wise11PassThroughES8_NS7_7AddReluELNS_25InMemoryDataOperationEnumE0ENS_16TensorDescriptorINS5_IJNS_5EmbedINS5_IJiiiiEEESD_Lb0EEENS_11PassThroughIiEENS_3PadIiiiLb0EEESI_SG_SG_NSC_INS5_IJiiEEESJ_Lb0EEESK_SG_NS_23Merge_v2_magic_divisionINS5_IJiiiEEEEESN_NS_8RightPadIiiLb0EEESP_NS_7UnMergeISJ_Lb0EEESG_EEENS5_IJNS_8SequenceIJLi0EEEENST_IJLi1EEEENST_IJLi2EEEENST_IJLi3EEEENST_IJLi4EEEENST_IJLi5EEEENST_IJLi6EEEENST_IJLi7EEEENST_IJLi8EEEENST_IJLi9ELi11ELi13EEEENST_IJLi10ELi12ELi14EEEENST_IJLi15EEEENST_IJLi16EEEENST_IJLi18EEEENST_IJLi17EEEEEEENS5_IJNST_IJLi1ELi2ELi3ELi4EEEESZ_S10_S11_S12_NST_IJLi9EEEENST_IJLi10ELi11EEEENST_IJLi12ELi13EEEENST_IJLi14EEEES15_S16_S18_S17_NST_IJLi19ELi20EEEENST_IJLi21EEEEEEENST_IJLi19ELi21ELi20EEEElEENSB_INS5_IJSR_SP_SP_SR_SG_EEENS5_IJSU_SV_SW_SY_SX_EEENS5_IJNST_IJLi1ELi2EEEESX_SY_NST_IJLi5ELi6EEEES11_EEENST_IJLi5ELi7ELi6EEEElEENSB_INS5_IJSK_SP_SP_EEENS5_IJSU_SV_SW_EEENS5_IJS1M_SX_SY_EEENST_IJLi3ELi4EEEElEELi128ELi128ELi16ELi4ELi4ELi4ELi1ENST_IJLi8ELi2EEEES1W_NST_IJLi8ELi1ELi1ELi4EEEENST_IJLi2ELi1ELi128ELi1EEEENST_IJLi1ELi2ELi0ELi3EEEES1Z_NST_IJLi4ELi1ELi1ELi4EEEES1Z_NST_IJLi1ELi1ELi1ELi4EEEES1X_S1Y_S1Z_S1Z_S20_S1Z_S21_NST_IJLi0ELi1ELi2ELi3ELi4ELi5EEEELi5ELi4EEEaNS5_IJPKaEEEaS8_S8_S9_NSB_INS5_IJSE_SG_SI_SI_SG_SG_SK_SK_SG_SN_SN_SP_SP_SR_SG_SG_NSQ_INS5_IJiNS_17integral_constantIiLi128EEEEEELb0EEENSF_INS27_IiLi4EEEEEEEENS5_IJSU_SV_SW_SX_SY_SZ_S10_S11_S12_S13_S14_S15_S16_S17_S18_NST_IJLi19EEEES1G_NST_IJLi20EEEEEEENS5_IJS1A_SZ_S10_S11_S12_S1B_S1C_S1D_S1E_S15_S16_S18_S17_S1F_S1G_NST_IJLi22EEEENST_IJLi23ELi24EEEENST_IJLi25EEEEEEENST_IJLi22ELi23ELi24ELi25EEEElEENSB_INS5_IJSR_SP_SP_SR_SG_SG_S2A_S2C_EEENS5_IJSU_SV_SW_SY_SX_SZ_S11_S10_EEENS5_IJS1M_SX_SY_S1N_S11_S12_NST_IJLi9ELi10EEEENST_IJLi11EEEEEEENST_IJLi8ELi9ELi10ELi11EEEElEENS5_IJNSB_INS5_IJSK_SP_SP_NSQ_INS5_IJiNS27_IiLi2EEENS27_IiLi64EEEEEELb0EEES2X_EEENS5_IJSU_SV_SW_SX_SY_EEENS5_IJS1M_SX_SY_NST_IJLi5ELi6ELi7EEEENST_IJLi8ELi9ELi10EEEEEEENST_IJLi5ELi6ELi7ELi8ELi9ELi10EEEElEEEEES34_NS_31BlockToCTileMap_M00_N00_M01_N01ILi128ELi128ES1V_Lb0EEENS1_30ComputePtrOffsetOfStridedBatchILi1ELi1ELi1EvEELb1ELb0EEEvPKT0_S3C_T1_PT2_T3_T4_T5_iT6_T7_T8_T9_T10_T11_.uses_vcc, 1
	.set _ZN2ck16tensor_operation6device12_GLOBAL__N_137kernel_grouped_conv_fwd_dl_multiple_dINS_32GridwiseGemmDlMultipleD_km_kn_mnILi256EaiNS_5TupleIJaEEEaNS0_12element_wise11PassThroughES8_NS7_7AddReluELNS_25InMemoryDataOperationEnumE0ENS_16TensorDescriptorINS5_IJNS_5EmbedINS5_IJiiiiEEESD_Lb0EEENS_11PassThroughIiEENS_3PadIiiiLb0EEESI_SG_SG_NSC_INS5_IJiiEEESJ_Lb0EEESK_SG_NS_23Merge_v2_magic_divisionINS5_IJiiiEEEEESN_NS_8RightPadIiiLb0EEESP_NS_7UnMergeISJ_Lb0EEESG_EEENS5_IJNS_8SequenceIJLi0EEEENST_IJLi1EEEENST_IJLi2EEEENST_IJLi3EEEENST_IJLi4EEEENST_IJLi5EEEENST_IJLi6EEEENST_IJLi7EEEENST_IJLi8EEEENST_IJLi9ELi11ELi13EEEENST_IJLi10ELi12ELi14EEEENST_IJLi15EEEENST_IJLi16EEEENST_IJLi18EEEENST_IJLi17EEEEEEENS5_IJNST_IJLi1ELi2ELi3ELi4EEEESZ_S10_S11_S12_NST_IJLi9EEEENST_IJLi10ELi11EEEENST_IJLi12ELi13EEEENST_IJLi14EEEES15_S16_S18_S17_NST_IJLi19ELi20EEEENST_IJLi21EEEEEEENST_IJLi19ELi21ELi20EEEElEENSB_INS5_IJSR_SP_SP_SR_SG_EEENS5_IJSU_SV_SW_SY_SX_EEENS5_IJNST_IJLi1ELi2EEEESX_SY_NST_IJLi5ELi6EEEES11_EEENST_IJLi5ELi7ELi6EEEElEENSB_INS5_IJSK_SP_SP_EEENS5_IJSU_SV_SW_EEENS5_IJS1M_SX_SY_EEENST_IJLi3ELi4EEEElEELi128ELi128ELi16ELi4ELi4ELi4ELi1ENST_IJLi8ELi2EEEES1W_NST_IJLi8ELi1ELi1ELi4EEEENST_IJLi2ELi1ELi128ELi1EEEENST_IJLi1ELi2ELi0ELi3EEEES1Z_NST_IJLi4ELi1ELi1ELi4EEEES1Z_NST_IJLi1ELi1ELi1ELi4EEEES1X_S1Y_S1Z_S1Z_S20_S1Z_S21_NST_IJLi0ELi1ELi2ELi3ELi4ELi5EEEELi5ELi4EEEaNS5_IJPKaEEEaS8_S8_S9_NSB_INS5_IJSE_SG_SI_SI_SG_SG_SK_SK_SG_SN_SN_SP_SP_SR_SG_SG_NSQ_INS5_IJiNS_17integral_constantIiLi128EEEEEELb0EEENSF_INS27_IiLi4EEEEEEEENS5_IJSU_SV_SW_SX_SY_SZ_S10_S11_S12_S13_S14_S15_S16_S17_S18_NST_IJLi19EEEES1G_NST_IJLi20EEEEEEENS5_IJS1A_SZ_S10_S11_S12_S1B_S1C_S1D_S1E_S15_S16_S18_S17_S1F_S1G_NST_IJLi22EEEENST_IJLi23ELi24EEEENST_IJLi25EEEEEEENST_IJLi22ELi23ELi24ELi25EEEElEENSB_INS5_IJSR_SP_SP_SR_SG_SG_S2A_S2C_EEENS5_IJSU_SV_SW_SY_SX_SZ_S11_S10_EEENS5_IJS1M_SX_SY_S1N_S11_S12_NST_IJLi9ELi10EEEENST_IJLi11EEEEEEENST_IJLi8ELi9ELi10ELi11EEEElEENS5_IJNSB_INS5_IJSK_SP_SP_NSQ_INS5_IJiNS27_IiLi2EEENS27_IiLi64EEEEEELb0EEES2X_EEENS5_IJSU_SV_SW_SX_SY_EEENS5_IJS1M_SX_SY_NST_IJLi5ELi6ELi7EEEENST_IJLi8ELi9ELi10EEEEEEENST_IJLi5ELi6ELi7ELi8ELi9ELi10EEEElEEEEES34_NS_31BlockToCTileMap_M00_N00_M01_N01ILi128ELi128ES1V_Lb0EEENS1_30ComputePtrOffsetOfStridedBatchILi1ELi1ELi1EvEELb1ELb0EEEvPKT0_S3C_T1_PT2_T3_T4_T5_iT6_T7_T8_T9_T10_T11_.uses_flat_scratch, 0
	.set _ZN2ck16tensor_operation6device12_GLOBAL__N_137kernel_grouped_conv_fwd_dl_multiple_dINS_32GridwiseGemmDlMultipleD_km_kn_mnILi256EaiNS_5TupleIJaEEEaNS0_12element_wise11PassThroughES8_NS7_7AddReluELNS_25InMemoryDataOperationEnumE0ENS_16TensorDescriptorINS5_IJNS_5EmbedINS5_IJiiiiEEESD_Lb0EEENS_11PassThroughIiEENS_3PadIiiiLb0EEESI_SG_SG_NSC_INS5_IJiiEEESJ_Lb0EEESK_SG_NS_23Merge_v2_magic_divisionINS5_IJiiiEEEEESN_NS_8RightPadIiiLb0EEESP_NS_7UnMergeISJ_Lb0EEESG_EEENS5_IJNS_8SequenceIJLi0EEEENST_IJLi1EEEENST_IJLi2EEEENST_IJLi3EEEENST_IJLi4EEEENST_IJLi5EEEENST_IJLi6EEEENST_IJLi7EEEENST_IJLi8EEEENST_IJLi9ELi11ELi13EEEENST_IJLi10ELi12ELi14EEEENST_IJLi15EEEENST_IJLi16EEEENST_IJLi18EEEENST_IJLi17EEEEEEENS5_IJNST_IJLi1ELi2ELi3ELi4EEEESZ_S10_S11_S12_NST_IJLi9EEEENST_IJLi10ELi11EEEENST_IJLi12ELi13EEEENST_IJLi14EEEES15_S16_S18_S17_NST_IJLi19ELi20EEEENST_IJLi21EEEEEEENST_IJLi19ELi21ELi20EEEElEENSB_INS5_IJSR_SP_SP_SR_SG_EEENS5_IJSU_SV_SW_SY_SX_EEENS5_IJNST_IJLi1ELi2EEEESX_SY_NST_IJLi5ELi6EEEES11_EEENST_IJLi5ELi7ELi6EEEElEENSB_INS5_IJSK_SP_SP_EEENS5_IJSU_SV_SW_EEENS5_IJS1M_SX_SY_EEENST_IJLi3ELi4EEEElEELi128ELi128ELi16ELi4ELi4ELi4ELi1ENST_IJLi8ELi2EEEES1W_NST_IJLi8ELi1ELi1ELi4EEEENST_IJLi2ELi1ELi128ELi1EEEENST_IJLi1ELi2ELi0ELi3EEEES1Z_NST_IJLi4ELi1ELi1ELi4EEEES1Z_NST_IJLi1ELi1ELi1ELi4EEEES1X_S1Y_S1Z_S1Z_S20_S1Z_S21_NST_IJLi0ELi1ELi2ELi3ELi4ELi5EEEELi5ELi4EEEaNS5_IJPKaEEEaS8_S8_S9_NSB_INS5_IJSE_SG_SI_SI_SG_SG_SK_SK_SG_SN_SN_SP_SP_SR_SG_SG_NSQ_INS5_IJiNS_17integral_constantIiLi128EEEEEELb0EEENSF_INS27_IiLi4EEEEEEEENS5_IJSU_SV_SW_SX_SY_SZ_S10_S11_S12_S13_S14_S15_S16_S17_S18_NST_IJLi19EEEES1G_NST_IJLi20EEEEEEENS5_IJS1A_SZ_S10_S11_S12_S1B_S1C_S1D_S1E_S15_S16_S18_S17_S1F_S1G_NST_IJLi22EEEENST_IJLi23ELi24EEEENST_IJLi25EEEEEEENST_IJLi22ELi23ELi24ELi25EEEElEENSB_INS5_IJSR_SP_SP_SR_SG_SG_S2A_S2C_EEENS5_IJSU_SV_SW_SY_SX_SZ_S11_S10_EEENS5_IJS1M_SX_SY_S1N_S11_S12_NST_IJLi9ELi10EEEENST_IJLi11EEEEEEENST_IJLi8ELi9ELi10ELi11EEEElEENS5_IJNSB_INS5_IJSK_SP_SP_NSQ_INS5_IJiNS27_IiLi2EEENS27_IiLi64EEEEEELb0EEES2X_EEENS5_IJSU_SV_SW_SX_SY_EEENS5_IJS1M_SX_SY_NST_IJLi5ELi6ELi7EEEENST_IJLi8ELi9ELi10EEEEEEENST_IJLi5ELi6ELi7ELi8ELi9ELi10EEEElEEEEES34_NS_31BlockToCTileMap_M00_N00_M01_N01ILi128ELi128ES1V_Lb0EEENS1_30ComputePtrOffsetOfStridedBatchILi1ELi1ELi1EvEELb1ELb0EEEvPKT0_S3C_T1_PT2_T3_T4_T5_iT6_T7_T8_T9_T10_T11_.has_dyn_sized_stack, 0
	.set _ZN2ck16tensor_operation6device12_GLOBAL__N_137kernel_grouped_conv_fwd_dl_multiple_dINS_32GridwiseGemmDlMultipleD_km_kn_mnILi256EaiNS_5TupleIJaEEEaNS0_12element_wise11PassThroughES8_NS7_7AddReluELNS_25InMemoryDataOperationEnumE0ENS_16TensorDescriptorINS5_IJNS_5EmbedINS5_IJiiiiEEESD_Lb0EEENS_11PassThroughIiEENS_3PadIiiiLb0EEESI_SG_SG_NSC_INS5_IJiiEEESJ_Lb0EEESK_SG_NS_23Merge_v2_magic_divisionINS5_IJiiiEEEEESN_NS_8RightPadIiiLb0EEESP_NS_7UnMergeISJ_Lb0EEESG_EEENS5_IJNS_8SequenceIJLi0EEEENST_IJLi1EEEENST_IJLi2EEEENST_IJLi3EEEENST_IJLi4EEEENST_IJLi5EEEENST_IJLi6EEEENST_IJLi7EEEENST_IJLi8EEEENST_IJLi9ELi11ELi13EEEENST_IJLi10ELi12ELi14EEEENST_IJLi15EEEENST_IJLi16EEEENST_IJLi18EEEENST_IJLi17EEEEEEENS5_IJNST_IJLi1ELi2ELi3ELi4EEEESZ_S10_S11_S12_NST_IJLi9EEEENST_IJLi10ELi11EEEENST_IJLi12ELi13EEEENST_IJLi14EEEES15_S16_S18_S17_NST_IJLi19ELi20EEEENST_IJLi21EEEEEEENST_IJLi19ELi21ELi20EEEElEENSB_INS5_IJSR_SP_SP_SR_SG_EEENS5_IJSU_SV_SW_SY_SX_EEENS5_IJNST_IJLi1ELi2EEEESX_SY_NST_IJLi5ELi6EEEES11_EEENST_IJLi5ELi7ELi6EEEElEENSB_INS5_IJSK_SP_SP_EEENS5_IJSU_SV_SW_EEENS5_IJS1M_SX_SY_EEENST_IJLi3ELi4EEEElEELi128ELi128ELi16ELi4ELi4ELi4ELi1ENST_IJLi8ELi2EEEES1W_NST_IJLi8ELi1ELi1ELi4EEEENST_IJLi2ELi1ELi128ELi1EEEENST_IJLi1ELi2ELi0ELi3EEEES1Z_NST_IJLi4ELi1ELi1ELi4EEEES1Z_NST_IJLi1ELi1ELi1ELi4EEEES1X_S1Y_S1Z_S1Z_S20_S1Z_S21_NST_IJLi0ELi1ELi2ELi3ELi4ELi5EEEELi5ELi4EEEaNS5_IJPKaEEEaS8_S8_S9_NSB_INS5_IJSE_SG_SI_SI_SG_SG_SK_SK_SG_SN_SN_SP_SP_SR_SG_SG_NSQ_INS5_IJiNS_17integral_constantIiLi128EEEEEELb0EEENSF_INS27_IiLi4EEEEEEEENS5_IJSU_SV_SW_SX_SY_SZ_S10_S11_S12_S13_S14_S15_S16_S17_S18_NST_IJLi19EEEES1G_NST_IJLi20EEEEEEENS5_IJS1A_SZ_S10_S11_S12_S1B_S1C_S1D_S1E_S15_S16_S18_S17_S1F_S1G_NST_IJLi22EEEENST_IJLi23ELi24EEEENST_IJLi25EEEEEEENST_IJLi22ELi23ELi24ELi25EEEElEENSB_INS5_IJSR_SP_SP_SR_SG_SG_S2A_S2C_EEENS5_IJSU_SV_SW_SY_SX_SZ_S11_S10_EEENS5_IJS1M_SX_SY_S1N_S11_S12_NST_IJLi9ELi10EEEENST_IJLi11EEEEEEENST_IJLi8ELi9ELi10ELi11EEEElEENS5_IJNSB_INS5_IJSK_SP_SP_NSQ_INS5_IJiNS27_IiLi2EEENS27_IiLi64EEEEEELb0EEES2X_EEENS5_IJSU_SV_SW_SX_SY_EEENS5_IJS1M_SX_SY_NST_IJLi5ELi6ELi7EEEENST_IJLi8ELi9ELi10EEEEEEENST_IJLi5ELi6ELi7ELi8ELi9ELi10EEEElEEEEES34_NS_31BlockToCTileMap_M00_N00_M01_N01ILi128ELi128ES1V_Lb0EEENS1_30ComputePtrOffsetOfStridedBatchILi1ELi1ELi1EvEELb1ELb0EEEvPKT0_S3C_T1_PT2_T3_T4_T5_iT6_T7_T8_T9_T10_T11_.has_recursion, 0
	.set _ZN2ck16tensor_operation6device12_GLOBAL__N_137kernel_grouped_conv_fwd_dl_multiple_dINS_32GridwiseGemmDlMultipleD_km_kn_mnILi256EaiNS_5TupleIJaEEEaNS0_12element_wise11PassThroughES8_NS7_7AddReluELNS_25InMemoryDataOperationEnumE0ENS_16TensorDescriptorINS5_IJNS_5EmbedINS5_IJiiiiEEESD_Lb0EEENS_11PassThroughIiEENS_3PadIiiiLb0EEESI_SG_SG_NSC_INS5_IJiiEEESJ_Lb0EEESK_SG_NS_23Merge_v2_magic_divisionINS5_IJiiiEEEEESN_NS_8RightPadIiiLb0EEESP_NS_7UnMergeISJ_Lb0EEESG_EEENS5_IJNS_8SequenceIJLi0EEEENST_IJLi1EEEENST_IJLi2EEEENST_IJLi3EEEENST_IJLi4EEEENST_IJLi5EEEENST_IJLi6EEEENST_IJLi7EEEENST_IJLi8EEEENST_IJLi9ELi11ELi13EEEENST_IJLi10ELi12ELi14EEEENST_IJLi15EEEENST_IJLi16EEEENST_IJLi18EEEENST_IJLi17EEEEEEENS5_IJNST_IJLi1ELi2ELi3ELi4EEEESZ_S10_S11_S12_NST_IJLi9EEEENST_IJLi10ELi11EEEENST_IJLi12ELi13EEEENST_IJLi14EEEES15_S16_S18_S17_NST_IJLi19ELi20EEEENST_IJLi21EEEEEEENST_IJLi19ELi21ELi20EEEElEENSB_INS5_IJSR_SP_SP_SR_SG_EEENS5_IJSU_SV_SW_SY_SX_EEENS5_IJNST_IJLi1ELi2EEEESX_SY_NST_IJLi5ELi6EEEES11_EEENST_IJLi5ELi7ELi6EEEElEENSB_INS5_IJSK_SP_SP_EEENS5_IJSU_SV_SW_EEENS5_IJS1M_SX_SY_EEENST_IJLi3ELi4EEEElEELi128ELi128ELi16ELi4ELi4ELi4ELi1ENST_IJLi8ELi2EEEES1W_NST_IJLi8ELi1ELi1ELi4EEEENST_IJLi2ELi1ELi128ELi1EEEENST_IJLi1ELi2ELi0ELi3EEEES1Z_NST_IJLi4ELi1ELi1ELi4EEEES1Z_NST_IJLi1ELi1ELi1ELi4EEEES1X_S1Y_S1Z_S1Z_S20_S1Z_S21_NST_IJLi0ELi1ELi2ELi3ELi4ELi5EEEELi5ELi4EEEaNS5_IJPKaEEEaS8_S8_S9_NSB_INS5_IJSE_SG_SI_SI_SG_SG_SK_SK_SG_SN_SN_SP_SP_SR_SG_SG_NSQ_INS5_IJiNS_17integral_constantIiLi128EEEEEELb0EEENSF_INS27_IiLi4EEEEEEEENS5_IJSU_SV_SW_SX_SY_SZ_S10_S11_S12_S13_S14_S15_S16_S17_S18_NST_IJLi19EEEES1G_NST_IJLi20EEEEEEENS5_IJS1A_SZ_S10_S11_S12_S1B_S1C_S1D_S1E_S15_S16_S18_S17_S1F_S1G_NST_IJLi22EEEENST_IJLi23ELi24EEEENST_IJLi25EEEEEEENST_IJLi22ELi23ELi24ELi25EEEElEENSB_INS5_IJSR_SP_SP_SR_SG_SG_S2A_S2C_EEENS5_IJSU_SV_SW_SY_SX_SZ_S11_S10_EEENS5_IJS1M_SX_SY_S1N_S11_S12_NST_IJLi9ELi10EEEENST_IJLi11EEEEEEENST_IJLi8ELi9ELi10ELi11EEEElEENS5_IJNSB_INS5_IJSK_SP_SP_NSQ_INS5_IJiNS27_IiLi2EEENS27_IiLi64EEEEEELb0EEES2X_EEENS5_IJSU_SV_SW_SX_SY_EEENS5_IJS1M_SX_SY_NST_IJLi5ELi6ELi7EEEENST_IJLi8ELi9ELi10EEEEEEENST_IJLi5ELi6ELi7ELi8ELi9ELi10EEEElEEEEES34_NS_31BlockToCTileMap_M00_N00_M01_N01ILi128ELi128ES1V_Lb0EEENS1_30ComputePtrOffsetOfStridedBatchILi1ELi1ELi1EvEELb1ELb0EEEvPKT0_S3C_T1_PT2_T3_T4_T5_iT6_T7_T8_T9_T10_T11_.has_indirect_call, 0
	.section	.AMDGPU.csdata,"",@progbits
; Kernel info:
; codeLenInByte = 34140
; TotalNumSgprs: 74
; NumVgprs: 203
; ScratchSize: 0
; MemoryBound: 0
; FloatMode: 240
; IeeeMode: 1
; LDSByteSize: 32768 bytes/workgroup (compile time only)
; SGPRBlocks: 0
; VGPRBlocks: 25
; NumSGPRsForWavesPerEU: 74
; NumVGPRsForWavesPerEU: 203
; Occupancy: 7
; WaveLimiterHint : 0
; COMPUTE_PGM_RSRC2:SCRATCH_EN: 0
; COMPUTE_PGM_RSRC2:USER_SGPR: 2
; COMPUTE_PGM_RSRC2:TRAP_HANDLER: 0
; COMPUTE_PGM_RSRC2:TGID_X_EN: 1
; COMPUTE_PGM_RSRC2:TGID_Y_EN: 0
; COMPUTE_PGM_RSRC2:TGID_Z_EN: 0
; COMPUTE_PGM_RSRC2:TIDIG_COMP_CNT: 0
	.section	.text._ZN2ck16tensor_operation6device12_GLOBAL__N_137kernel_grouped_conv_fwd_dl_multiple_dINS_32GridwiseGemmDlMultipleD_km_kn_mnILi256EaiNS_5TupleIJaEEEaNS0_12element_wise11PassThroughES8_NS7_7AddReluELNS_25InMemoryDataOperationEnumE0ENS_16TensorDescriptorINS5_IJNS_5EmbedINS5_IJiiiiEEESD_Lb0EEENS_11PassThroughIiEENS_3PadIiiiLb0EEESI_SG_SG_NSC_INS5_IJiiEEESJ_Lb0EEESK_SG_NS_23Merge_v2_magic_divisionINS5_IJiiiEEEEESN_NS_8RightPadIiiLb0EEESP_NS_7UnMergeISJ_Lb0EEESG_EEENS5_IJNS_8SequenceIJLi0EEEENST_IJLi1EEEENST_IJLi2EEEENST_IJLi3EEEENST_IJLi4EEEENST_IJLi5EEEENST_IJLi6EEEENST_IJLi7EEEENST_IJLi8EEEENST_IJLi9ELi11ELi13EEEENST_IJLi10ELi12ELi14EEEENST_IJLi15EEEENST_IJLi16EEEENST_IJLi18EEEENST_IJLi17EEEEEEENS5_IJNST_IJLi1ELi2ELi3ELi4EEEESZ_S10_S11_S12_NST_IJLi9EEEENST_IJLi10ELi11EEEENST_IJLi12ELi13EEEENST_IJLi14EEEES15_S16_S18_S17_NST_IJLi19ELi20EEEENST_IJLi21EEEEEEENST_IJLi19ELi21ELi20EEEElEENSB_INS5_IJSR_SP_SP_SR_SG_EEENS5_IJSU_SV_SW_SY_SX_EEENS5_IJNST_IJLi1ELi2EEEESX_SY_NST_IJLi5ELi6EEEES11_EEENST_IJLi5ELi7ELi6EEEElEENSB_INS5_IJSK_SP_SP_EEENS5_IJSU_SV_SW_EEENS5_IJS1M_SX_SY_EEENST_IJLi3ELi4EEEElEELi128ELi128ELi16ELi4ELi4ELi4ELi1ENST_IJLi8ELi2EEEES1W_NST_IJLi8ELi1ELi1ELi4EEEENST_IJLi2ELi1ELi128ELi1EEEENST_IJLi1ELi2ELi0ELi3EEEES1Z_NST_IJLi4ELi1ELi1ELi4EEEES1Z_NST_IJLi1ELi1ELi1ELi4EEEES1X_S1Y_S1Z_S1Z_S20_S1Z_S21_NST_IJLi0ELi1ELi2ELi3ELi4ELi5EEEELi5ELi4EEEaNS5_IJPKaEEEaS8_S8_S9_NSB_INS5_IJSE_SG_SI_SI_SG_SG_SK_SK_SG_SN_SN_SP_SP_SR_SG_SG_NSQ_INS5_IJiNS_17integral_constantIiLi128EEEEEELb0EEENSF_INS27_IiLi4EEEEEEEENS5_IJSU_SV_SW_SX_SY_SZ_S10_S11_S12_S13_S14_S15_S16_S17_S18_NST_IJLi19EEEES1G_NST_IJLi20EEEEEEENS5_IJS1A_SZ_S10_S11_S12_S1B_S1C_S1D_S1E_S15_S16_S18_S17_S1F_S1G_NST_IJLi22EEEENST_IJLi23ELi24EEEENST_IJLi25EEEEEEENST_IJLi22ELi23ELi24ELi25EEEElEENSB_INS5_IJSR_SP_SP_SR_SG_SG_S2A_S2C_EEENS5_IJSU_SV_SW_SY_SX_SZ_S11_S10_EEENS5_IJS1M_SX_SY_S1N_S11_S12_NST_IJLi9ELi10EEEENST_IJLi11EEEEEEENST_IJLi8ELi9ELi10ELi11EEEElEENS5_IJNSB_INS5_IJSK_SP_SP_NSQ_INS5_IJiNS27_IiLi2EEENS27_IiLi64EEEEEELb0EEES2X_EEENS5_IJSU_SV_SW_SX_SY_EEENS5_IJS1M_SX_SY_NST_IJLi5ELi6ELi7EEEENST_IJLi8ELi9ELi10EEEEEEENST_IJLi5ELi6ELi7ELi8ELi9ELi10EEEElEEEEES34_NS_31BlockToCTileMap_M00_N00_M01_N01ILi128ELi128ES1V_Lb0EEENS1_30ComputePtrOffsetOfStridedBatchILi1ELi1ELi1EvEELb0ELb1EEEvPKT0_S3C_T1_PT2_T3_T4_T5_iT6_T7_T8_T9_T10_T11_,"axG",@progbits,_ZN2ck16tensor_operation6device12_GLOBAL__N_137kernel_grouped_conv_fwd_dl_multiple_dINS_32GridwiseGemmDlMultipleD_km_kn_mnILi256EaiNS_5TupleIJaEEEaNS0_12element_wise11PassThroughES8_NS7_7AddReluELNS_25InMemoryDataOperationEnumE0ENS_16TensorDescriptorINS5_IJNS_5EmbedINS5_IJiiiiEEESD_Lb0EEENS_11PassThroughIiEENS_3PadIiiiLb0EEESI_SG_SG_NSC_INS5_IJiiEEESJ_Lb0EEESK_SG_NS_23Merge_v2_magic_divisionINS5_IJiiiEEEEESN_NS_8RightPadIiiLb0EEESP_NS_7UnMergeISJ_Lb0EEESG_EEENS5_IJNS_8SequenceIJLi0EEEENST_IJLi1EEEENST_IJLi2EEEENST_IJLi3EEEENST_IJLi4EEEENST_IJLi5EEEENST_IJLi6EEEENST_IJLi7EEEENST_IJLi8EEEENST_IJLi9ELi11ELi13EEEENST_IJLi10ELi12ELi14EEEENST_IJLi15EEEENST_IJLi16EEEENST_IJLi18EEEENST_IJLi17EEEEEEENS5_IJNST_IJLi1ELi2ELi3ELi4EEEESZ_S10_S11_S12_NST_IJLi9EEEENST_IJLi10ELi11EEEENST_IJLi12ELi13EEEENST_IJLi14EEEES15_S16_S18_S17_NST_IJLi19ELi20EEEENST_IJLi21EEEEEEENST_IJLi19ELi21ELi20EEEElEENSB_INS5_IJSR_SP_SP_SR_SG_EEENS5_IJSU_SV_SW_SY_SX_EEENS5_IJNST_IJLi1ELi2EEEESX_SY_NST_IJLi5ELi6EEEES11_EEENST_IJLi5ELi7ELi6EEEElEENSB_INS5_IJSK_SP_SP_EEENS5_IJSU_SV_SW_EEENS5_IJS1M_SX_SY_EEENST_IJLi3ELi4EEEElEELi128ELi128ELi16ELi4ELi4ELi4ELi1ENST_IJLi8ELi2EEEES1W_NST_IJLi8ELi1ELi1ELi4EEEENST_IJLi2ELi1ELi128ELi1EEEENST_IJLi1ELi2ELi0ELi3EEEES1Z_NST_IJLi4ELi1ELi1ELi4EEEES1Z_NST_IJLi1ELi1ELi1ELi4EEEES1X_S1Y_S1Z_S1Z_S20_S1Z_S21_NST_IJLi0ELi1ELi2ELi3ELi4ELi5EEEELi5ELi4EEEaNS5_IJPKaEEEaS8_S8_S9_NSB_INS5_IJSE_SG_SI_SI_SG_SG_SK_SK_SG_SN_SN_SP_SP_SR_SG_SG_NSQ_INS5_IJiNS_17integral_constantIiLi128EEEEEELb0EEENSF_INS27_IiLi4EEEEEEEENS5_IJSU_SV_SW_SX_SY_SZ_S10_S11_S12_S13_S14_S15_S16_S17_S18_NST_IJLi19EEEES1G_NST_IJLi20EEEEEEENS5_IJS1A_SZ_S10_S11_S12_S1B_S1C_S1D_S1E_S15_S16_S18_S17_S1F_S1G_NST_IJLi22EEEENST_IJLi23ELi24EEEENST_IJLi25EEEEEEENST_IJLi22ELi23ELi24ELi25EEEElEENSB_INS5_IJSR_SP_SP_SR_SG_SG_S2A_S2C_EEENS5_IJSU_SV_SW_SY_SX_SZ_S11_S10_EEENS5_IJS1M_SX_SY_S1N_S11_S12_NST_IJLi9ELi10EEEENST_IJLi11EEEEEEENST_IJLi8ELi9ELi10ELi11EEEElEENS5_IJNSB_INS5_IJSK_SP_SP_NSQ_INS5_IJiNS27_IiLi2EEENS27_IiLi64EEEEEELb0EEES2X_EEENS5_IJSU_SV_SW_SX_SY_EEENS5_IJS1M_SX_SY_NST_IJLi5ELi6ELi7EEEENST_IJLi8ELi9ELi10EEEEEEENST_IJLi5ELi6ELi7ELi8ELi9ELi10EEEElEEEEES34_NS_31BlockToCTileMap_M00_N00_M01_N01ILi128ELi128ES1V_Lb0EEENS1_30ComputePtrOffsetOfStridedBatchILi1ELi1ELi1EvEELb0ELb1EEEvPKT0_S3C_T1_PT2_T3_T4_T5_iT6_T7_T8_T9_T10_T11_,comdat
	.globl	_ZN2ck16tensor_operation6device12_GLOBAL__N_137kernel_grouped_conv_fwd_dl_multiple_dINS_32GridwiseGemmDlMultipleD_km_kn_mnILi256EaiNS_5TupleIJaEEEaNS0_12element_wise11PassThroughES8_NS7_7AddReluELNS_25InMemoryDataOperationEnumE0ENS_16TensorDescriptorINS5_IJNS_5EmbedINS5_IJiiiiEEESD_Lb0EEENS_11PassThroughIiEENS_3PadIiiiLb0EEESI_SG_SG_NSC_INS5_IJiiEEESJ_Lb0EEESK_SG_NS_23Merge_v2_magic_divisionINS5_IJiiiEEEEESN_NS_8RightPadIiiLb0EEESP_NS_7UnMergeISJ_Lb0EEESG_EEENS5_IJNS_8SequenceIJLi0EEEENST_IJLi1EEEENST_IJLi2EEEENST_IJLi3EEEENST_IJLi4EEEENST_IJLi5EEEENST_IJLi6EEEENST_IJLi7EEEENST_IJLi8EEEENST_IJLi9ELi11ELi13EEEENST_IJLi10ELi12ELi14EEEENST_IJLi15EEEENST_IJLi16EEEENST_IJLi18EEEENST_IJLi17EEEEEEENS5_IJNST_IJLi1ELi2ELi3ELi4EEEESZ_S10_S11_S12_NST_IJLi9EEEENST_IJLi10ELi11EEEENST_IJLi12ELi13EEEENST_IJLi14EEEES15_S16_S18_S17_NST_IJLi19ELi20EEEENST_IJLi21EEEEEEENST_IJLi19ELi21ELi20EEEElEENSB_INS5_IJSR_SP_SP_SR_SG_EEENS5_IJSU_SV_SW_SY_SX_EEENS5_IJNST_IJLi1ELi2EEEESX_SY_NST_IJLi5ELi6EEEES11_EEENST_IJLi5ELi7ELi6EEEElEENSB_INS5_IJSK_SP_SP_EEENS5_IJSU_SV_SW_EEENS5_IJS1M_SX_SY_EEENST_IJLi3ELi4EEEElEELi128ELi128ELi16ELi4ELi4ELi4ELi1ENST_IJLi8ELi2EEEES1W_NST_IJLi8ELi1ELi1ELi4EEEENST_IJLi2ELi1ELi128ELi1EEEENST_IJLi1ELi2ELi0ELi3EEEES1Z_NST_IJLi4ELi1ELi1ELi4EEEES1Z_NST_IJLi1ELi1ELi1ELi4EEEES1X_S1Y_S1Z_S1Z_S20_S1Z_S21_NST_IJLi0ELi1ELi2ELi3ELi4ELi5EEEELi5ELi4EEEaNS5_IJPKaEEEaS8_S8_S9_NSB_INS5_IJSE_SG_SI_SI_SG_SG_SK_SK_SG_SN_SN_SP_SP_SR_SG_SG_NSQ_INS5_IJiNS_17integral_constantIiLi128EEEEEELb0EEENSF_INS27_IiLi4EEEEEEEENS5_IJSU_SV_SW_SX_SY_SZ_S10_S11_S12_S13_S14_S15_S16_S17_S18_NST_IJLi19EEEES1G_NST_IJLi20EEEEEEENS5_IJS1A_SZ_S10_S11_S12_S1B_S1C_S1D_S1E_S15_S16_S18_S17_S1F_S1G_NST_IJLi22EEEENST_IJLi23ELi24EEEENST_IJLi25EEEEEEENST_IJLi22ELi23ELi24ELi25EEEElEENSB_INS5_IJSR_SP_SP_SR_SG_SG_S2A_S2C_EEENS5_IJSU_SV_SW_SY_SX_SZ_S11_S10_EEENS5_IJS1M_SX_SY_S1N_S11_S12_NST_IJLi9ELi10EEEENST_IJLi11EEEEEEENST_IJLi8ELi9ELi10ELi11EEEElEENS5_IJNSB_INS5_IJSK_SP_SP_NSQ_INS5_IJiNS27_IiLi2EEENS27_IiLi64EEEEEELb0EEES2X_EEENS5_IJSU_SV_SW_SX_SY_EEENS5_IJS1M_SX_SY_NST_IJLi5ELi6ELi7EEEENST_IJLi8ELi9ELi10EEEEEEENST_IJLi5ELi6ELi7ELi8ELi9ELi10EEEElEEEEES34_NS_31BlockToCTileMap_M00_N00_M01_N01ILi128ELi128ES1V_Lb0EEENS1_30ComputePtrOffsetOfStridedBatchILi1ELi1ELi1EvEELb0ELb1EEEvPKT0_S3C_T1_PT2_T3_T4_T5_iT6_T7_T8_T9_T10_T11_ ; -- Begin function _ZN2ck16tensor_operation6device12_GLOBAL__N_137kernel_grouped_conv_fwd_dl_multiple_dINS_32GridwiseGemmDlMultipleD_km_kn_mnILi256EaiNS_5TupleIJaEEEaNS0_12element_wise11PassThroughES8_NS7_7AddReluELNS_25InMemoryDataOperationEnumE0ENS_16TensorDescriptorINS5_IJNS_5EmbedINS5_IJiiiiEEESD_Lb0EEENS_11PassThroughIiEENS_3PadIiiiLb0EEESI_SG_SG_NSC_INS5_IJiiEEESJ_Lb0EEESK_SG_NS_23Merge_v2_magic_divisionINS5_IJiiiEEEEESN_NS_8RightPadIiiLb0EEESP_NS_7UnMergeISJ_Lb0EEESG_EEENS5_IJNS_8SequenceIJLi0EEEENST_IJLi1EEEENST_IJLi2EEEENST_IJLi3EEEENST_IJLi4EEEENST_IJLi5EEEENST_IJLi6EEEENST_IJLi7EEEENST_IJLi8EEEENST_IJLi9ELi11ELi13EEEENST_IJLi10ELi12ELi14EEEENST_IJLi15EEEENST_IJLi16EEEENST_IJLi18EEEENST_IJLi17EEEEEEENS5_IJNST_IJLi1ELi2ELi3ELi4EEEESZ_S10_S11_S12_NST_IJLi9EEEENST_IJLi10ELi11EEEENST_IJLi12ELi13EEEENST_IJLi14EEEES15_S16_S18_S17_NST_IJLi19ELi20EEEENST_IJLi21EEEEEEENST_IJLi19ELi21ELi20EEEElEENSB_INS5_IJSR_SP_SP_SR_SG_EEENS5_IJSU_SV_SW_SY_SX_EEENS5_IJNST_IJLi1ELi2EEEESX_SY_NST_IJLi5ELi6EEEES11_EEENST_IJLi5ELi7ELi6EEEElEENSB_INS5_IJSK_SP_SP_EEENS5_IJSU_SV_SW_EEENS5_IJS1M_SX_SY_EEENST_IJLi3ELi4EEEElEELi128ELi128ELi16ELi4ELi4ELi4ELi1ENST_IJLi8ELi2EEEES1W_NST_IJLi8ELi1ELi1ELi4EEEENST_IJLi2ELi1ELi128ELi1EEEENST_IJLi1ELi2ELi0ELi3EEEES1Z_NST_IJLi4ELi1ELi1ELi4EEEES1Z_NST_IJLi1ELi1ELi1ELi4EEEES1X_S1Y_S1Z_S1Z_S20_S1Z_S21_NST_IJLi0ELi1ELi2ELi3ELi4ELi5EEEELi5ELi4EEEaNS5_IJPKaEEEaS8_S8_S9_NSB_INS5_IJSE_SG_SI_SI_SG_SG_SK_SK_SG_SN_SN_SP_SP_SR_SG_SG_NSQ_INS5_IJiNS_17integral_constantIiLi128EEEEEELb0EEENSF_INS27_IiLi4EEEEEEEENS5_IJSU_SV_SW_SX_SY_SZ_S10_S11_S12_S13_S14_S15_S16_S17_S18_NST_IJLi19EEEES1G_NST_IJLi20EEEEEEENS5_IJS1A_SZ_S10_S11_S12_S1B_S1C_S1D_S1E_S15_S16_S18_S17_S1F_S1G_NST_IJLi22EEEENST_IJLi23ELi24EEEENST_IJLi25EEEEEEENST_IJLi22ELi23ELi24ELi25EEEElEENSB_INS5_IJSR_SP_SP_SR_SG_SG_S2A_S2C_EEENS5_IJSU_SV_SW_SY_SX_SZ_S11_S10_EEENS5_IJS1M_SX_SY_S1N_S11_S12_NST_IJLi9ELi10EEEENST_IJLi11EEEEEEENST_IJLi8ELi9ELi10ELi11EEEElEENS5_IJNSB_INS5_IJSK_SP_SP_NSQ_INS5_IJiNS27_IiLi2EEENS27_IiLi64EEEEEELb0EEES2X_EEENS5_IJSU_SV_SW_SX_SY_EEENS5_IJS1M_SX_SY_NST_IJLi5ELi6ELi7EEEENST_IJLi8ELi9ELi10EEEEEEENST_IJLi5ELi6ELi7ELi8ELi9ELi10EEEElEEEEES34_NS_31BlockToCTileMap_M00_N00_M01_N01ILi128ELi128ES1V_Lb0EEENS1_30ComputePtrOffsetOfStridedBatchILi1ELi1ELi1EvEELb0ELb1EEEvPKT0_S3C_T1_PT2_T3_T4_T5_iT6_T7_T8_T9_T10_T11_
	.p2align	8
	.type	_ZN2ck16tensor_operation6device12_GLOBAL__N_137kernel_grouped_conv_fwd_dl_multiple_dINS_32GridwiseGemmDlMultipleD_km_kn_mnILi256EaiNS_5TupleIJaEEEaNS0_12element_wise11PassThroughES8_NS7_7AddReluELNS_25InMemoryDataOperationEnumE0ENS_16TensorDescriptorINS5_IJNS_5EmbedINS5_IJiiiiEEESD_Lb0EEENS_11PassThroughIiEENS_3PadIiiiLb0EEESI_SG_SG_NSC_INS5_IJiiEEESJ_Lb0EEESK_SG_NS_23Merge_v2_magic_divisionINS5_IJiiiEEEEESN_NS_8RightPadIiiLb0EEESP_NS_7UnMergeISJ_Lb0EEESG_EEENS5_IJNS_8SequenceIJLi0EEEENST_IJLi1EEEENST_IJLi2EEEENST_IJLi3EEEENST_IJLi4EEEENST_IJLi5EEEENST_IJLi6EEEENST_IJLi7EEEENST_IJLi8EEEENST_IJLi9ELi11ELi13EEEENST_IJLi10ELi12ELi14EEEENST_IJLi15EEEENST_IJLi16EEEENST_IJLi18EEEENST_IJLi17EEEEEEENS5_IJNST_IJLi1ELi2ELi3ELi4EEEESZ_S10_S11_S12_NST_IJLi9EEEENST_IJLi10ELi11EEEENST_IJLi12ELi13EEEENST_IJLi14EEEES15_S16_S18_S17_NST_IJLi19ELi20EEEENST_IJLi21EEEEEEENST_IJLi19ELi21ELi20EEEElEENSB_INS5_IJSR_SP_SP_SR_SG_EEENS5_IJSU_SV_SW_SY_SX_EEENS5_IJNST_IJLi1ELi2EEEESX_SY_NST_IJLi5ELi6EEEES11_EEENST_IJLi5ELi7ELi6EEEElEENSB_INS5_IJSK_SP_SP_EEENS5_IJSU_SV_SW_EEENS5_IJS1M_SX_SY_EEENST_IJLi3ELi4EEEElEELi128ELi128ELi16ELi4ELi4ELi4ELi1ENST_IJLi8ELi2EEEES1W_NST_IJLi8ELi1ELi1ELi4EEEENST_IJLi2ELi1ELi128ELi1EEEENST_IJLi1ELi2ELi0ELi3EEEES1Z_NST_IJLi4ELi1ELi1ELi4EEEES1Z_NST_IJLi1ELi1ELi1ELi4EEEES1X_S1Y_S1Z_S1Z_S20_S1Z_S21_NST_IJLi0ELi1ELi2ELi3ELi4ELi5EEEELi5ELi4EEEaNS5_IJPKaEEEaS8_S8_S9_NSB_INS5_IJSE_SG_SI_SI_SG_SG_SK_SK_SG_SN_SN_SP_SP_SR_SG_SG_NSQ_INS5_IJiNS_17integral_constantIiLi128EEEEEELb0EEENSF_INS27_IiLi4EEEEEEEENS5_IJSU_SV_SW_SX_SY_SZ_S10_S11_S12_S13_S14_S15_S16_S17_S18_NST_IJLi19EEEES1G_NST_IJLi20EEEEEEENS5_IJS1A_SZ_S10_S11_S12_S1B_S1C_S1D_S1E_S15_S16_S18_S17_S1F_S1G_NST_IJLi22EEEENST_IJLi23ELi24EEEENST_IJLi25EEEEEEENST_IJLi22ELi23ELi24ELi25EEEElEENSB_INS5_IJSR_SP_SP_SR_SG_SG_S2A_S2C_EEENS5_IJSU_SV_SW_SY_SX_SZ_S11_S10_EEENS5_IJS1M_SX_SY_S1N_S11_S12_NST_IJLi9ELi10EEEENST_IJLi11EEEEEEENST_IJLi8ELi9ELi10ELi11EEEElEENS5_IJNSB_INS5_IJSK_SP_SP_NSQ_INS5_IJiNS27_IiLi2EEENS27_IiLi64EEEEEELb0EEES2X_EEENS5_IJSU_SV_SW_SX_SY_EEENS5_IJS1M_SX_SY_NST_IJLi5ELi6ELi7EEEENST_IJLi8ELi9ELi10EEEEEEENST_IJLi5ELi6ELi7ELi8ELi9ELi10EEEElEEEEES34_NS_31BlockToCTileMap_M00_N00_M01_N01ILi128ELi128ES1V_Lb0EEENS1_30ComputePtrOffsetOfStridedBatchILi1ELi1ELi1EvEELb0ELb1EEEvPKT0_S3C_T1_PT2_T3_T4_T5_iT6_T7_T8_T9_T10_T11_,@function
_ZN2ck16tensor_operation6device12_GLOBAL__N_137kernel_grouped_conv_fwd_dl_multiple_dINS_32GridwiseGemmDlMultipleD_km_kn_mnILi256EaiNS_5TupleIJaEEEaNS0_12element_wise11PassThroughES8_NS7_7AddReluELNS_25InMemoryDataOperationEnumE0ENS_16TensorDescriptorINS5_IJNS_5EmbedINS5_IJiiiiEEESD_Lb0EEENS_11PassThroughIiEENS_3PadIiiiLb0EEESI_SG_SG_NSC_INS5_IJiiEEESJ_Lb0EEESK_SG_NS_23Merge_v2_magic_divisionINS5_IJiiiEEEEESN_NS_8RightPadIiiLb0EEESP_NS_7UnMergeISJ_Lb0EEESG_EEENS5_IJNS_8SequenceIJLi0EEEENST_IJLi1EEEENST_IJLi2EEEENST_IJLi3EEEENST_IJLi4EEEENST_IJLi5EEEENST_IJLi6EEEENST_IJLi7EEEENST_IJLi8EEEENST_IJLi9ELi11ELi13EEEENST_IJLi10ELi12ELi14EEEENST_IJLi15EEEENST_IJLi16EEEENST_IJLi18EEEENST_IJLi17EEEEEEENS5_IJNST_IJLi1ELi2ELi3ELi4EEEESZ_S10_S11_S12_NST_IJLi9EEEENST_IJLi10ELi11EEEENST_IJLi12ELi13EEEENST_IJLi14EEEES15_S16_S18_S17_NST_IJLi19ELi20EEEENST_IJLi21EEEEEEENST_IJLi19ELi21ELi20EEEElEENSB_INS5_IJSR_SP_SP_SR_SG_EEENS5_IJSU_SV_SW_SY_SX_EEENS5_IJNST_IJLi1ELi2EEEESX_SY_NST_IJLi5ELi6EEEES11_EEENST_IJLi5ELi7ELi6EEEElEENSB_INS5_IJSK_SP_SP_EEENS5_IJSU_SV_SW_EEENS5_IJS1M_SX_SY_EEENST_IJLi3ELi4EEEElEELi128ELi128ELi16ELi4ELi4ELi4ELi1ENST_IJLi8ELi2EEEES1W_NST_IJLi8ELi1ELi1ELi4EEEENST_IJLi2ELi1ELi128ELi1EEEENST_IJLi1ELi2ELi0ELi3EEEES1Z_NST_IJLi4ELi1ELi1ELi4EEEES1Z_NST_IJLi1ELi1ELi1ELi4EEEES1X_S1Y_S1Z_S1Z_S20_S1Z_S21_NST_IJLi0ELi1ELi2ELi3ELi4ELi5EEEELi5ELi4EEEaNS5_IJPKaEEEaS8_S8_S9_NSB_INS5_IJSE_SG_SI_SI_SG_SG_SK_SK_SG_SN_SN_SP_SP_SR_SG_SG_NSQ_INS5_IJiNS_17integral_constantIiLi128EEEEEELb0EEENSF_INS27_IiLi4EEEEEEEENS5_IJSU_SV_SW_SX_SY_SZ_S10_S11_S12_S13_S14_S15_S16_S17_S18_NST_IJLi19EEEES1G_NST_IJLi20EEEEEEENS5_IJS1A_SZ_S10_S11_S12_S1B_S1C_S1D_S1E_S15_S16_S18_S17_S1F_S1G_NST_IJLi22EEEENST_IJLi23ELi24EEEENST_IJLi25EEEEEEENST_IJLi22ELi23ELi24ELi25EEEElEENSB_INS5_IJSR_SP_SP_SR_SG_SG_S2A_S2C_EEENS5_IJSU_SV_SW_SY_SX_SZ_S11_S10_EEENS5_IJS1M_SX_SY_S1N_S11_S12_NST_IJLi9ELi10EEEENST_IJLi11EEEEEEENST_IJLi8ELi9ELi10ELi11EEEElEENS5_IJNSB_INS5_IJSK_SP_SP_NSQ_INS5_IJiNS27_IiLi2EEENS27_IiLi64EEEEEELb0EEES2X_EEENS5_IJSU_SV_SW_SX_SY_EEENS5_IJS1M_SX_SY_NST_IJLi5ELi6ELi7EEEENST_IJLi8ELi9ELi10EEEEEEENST_IJLi5ELi6ELi7ELi8ELi9ELi10EEEElEEEEES34_NS_31BlockToCTileMap_M00_N00_M01_N01ILi128ELi128ES1V_Lb0EEENS1_30ComputePtrOffsetOfStridedBatchILi1ELi1ELi1EvEELb0ELb1EEEvPKT0_S3C_T1_PT2_T3_T4_T5_iT6_T7_T8_T9_T10_T11_: ; @_ZN2ck16tensor_operation6device12_GLOBAL__N_137kernel_grouped_conv_fwd_dl_multiple_dINS_32GridwiseGemmDlMultipleD_km_kn_mnILi256EaiNS_5TupleIJaEEEaNS0_12element_wise11PassThroughES8_NS7_7AddReluELNS_25InMemoryDataOperationEnumE0ENS_16TensorDescriptorINS5_IJNS_5EmbedINS5_IJiiiiEEESD_Lb0EEENS_11PassThroughIiEENS_3PadIiiiLb0EEESI_SG_SG_NSC_INS5_IJiiEEESJ_Lb0EEESK_SG_NS_23Merge_v2_magic_divisionINS5_IJiiiEEEEESN_NS_8RightPadIiiLb0EEESP_NS_7UnMergeISJ_Lb0EEESG_EEENS5_IJNS_8SequenceIJLi0EEEENST_IJLi1EEEENST_IJLi2EEEENST_IJLi3EEEENST_IJLi4EEEENST_IJLi5EEEENST_IJLi6EEEENST_IJLi7EEEENST_IJLi8EEEENST_IJLi9ELi11ELi13EEEENST_IJLi10ELi12ELi14EEEENST_IJLi15EEEENST_IJLi16EEEENST_IJLi18EEEENST_IJLi17EEEEEEENS5_IJNST_IJLi1ELi2ELi3ELi4EEEESZ_S10_S11_S12_NST_IJLi9EEEENST_IJLi10ELi11EEEENST_IJLi12ELi13EEEENST_IJLi14EEEES15_S16_S18_S17_NST_IJLi19ELi20EEEENST_IJLi21EEEEEEENST_IJLi19ELi21ELi20EEEElEENSB_INS5_IJSR_SP_SP_SR_SG_EEENS5_IJSU_SV_SW_SY_SX_EEENS5_IJNST_IJLi1ELi2EEEESX_SY_NST_IJLi5ELi6EEEES11_EEENST_IJLi5ELi7ELi6EEEElEENSB_INS5_IJSK_SP_SP_EEENS5_IJSU_SV_SW_EEENS5_IJS1M_SX_SY_EEENST_IJLi3ELi4EEEElEELi128ELi128ELi16ELi4ELi4ELi4ELi1ENST_IJLi8ELi2EEEES1W_NST_IJLi8ELi1ELi1ELi4EEEENST_IJLi2ELi1ELi128ELi1EEEENST_IJLi1ELi2ELi0ELi3EEEES1Z_NST_IJLi4ELi1ELi1ELi4EEEES1Z_NST_IJLi1ELi1ELi1ELi4EEEES1X_S1Y_S1Z_S1Z_S20_S1Z_S21_NST_IJLi0ELi1ELi2ELi3ELi4ELi5EEEELi5ELi4EEEaNS5_IJPKaEEEaS8_S8_S9_NSB_INS5_IJSE_SG_SI_SI_SG_SG_SK_SK_SG_SN_SN_SP_SP_SR_SG_SG_NSQ_INS5_IJiNS_17integral_constantIiLi128EEEEEELb0EEENSF_INS27_IiLi4EEEEEEEENS5_IJSU_SV_SW_SX_SY_SZ_S10_S11_S12_S13_S14_S15_S16_S17_S18_NST_IJLi19EEEES1G_NST_IJLi20EEEEEEENS5_IJS1A_SZ_S10_S11_S12_S1B_S1C_S1D_S1E_S15_S16_S18_S17_S1F_S1G_NST_IJLi22EEEENST_IJLi23ELi24EEEENST_IJLi25EEEEEEENST_IJLi22ELi23ELi24ELi25EEEElEENSB_INS5_IJSR_SP_SP_SR_SG_SG_S2A_S2C_EEENS5_IJSU_SV_SW_SY_SX_SZ_S11_S10_EEENS5_IJS1M_SX_SY_S1N_S11_S12_NST_IJLi9ELi10EEEENST_IJLi11EEEEEEENST_IJLi8ELi9ELi10ELi11EEEElEENS5_IJNSB_INS5_IJSK_SP_SP_NSQ_INS5_IJiNS27_IiLi2EEENS27_IiLi64EEEEEELb0EEES2X_EEENS5_IJSU_SV_SW_SX_SY_EEENS5_IJS1M_SX_SY_NST_IJLi5ELi6ELi7EEEENST_IJLi8ELi9ELi10EEEEEEENST_IJLi5ELi6ELi7ELi8ELi9ELi10EEEElEEEEES34_NS_31BlockToCTileMap_M00_N00_M01_N01ILi128ELi128ES1V_Lb0EEENS1_30ComputePtrOffsetOfStridedBatchILi1ELi1ELi1EvEELb0ELb1EEEvPKT0_S3C_T1_PT2_T3_T4_T5_iT6_T7_T8_T9_T10_T11_
; %bb.0:
	s_clause 0x1
	s_load_b32 s2, s[0:1], 0x24
	s_load_b128 s[36:39], s[0:1], 0x38
	v_lshrrev_b32_e32 v23, 1, v0
	s_mov_b32 s27, 0x31004000
	v_lshrrev_b32_e32 v37, 5, v0
	s_mov_b32 s43, s27
	v_lshlrev_b32_e32 v38, 1, v0
	s_load_b128 s[16:19], s[0:1], 0x288
	s_delay_alu instid0(VALU_DEP_2) | instskip(SKIP_1) | instid1(VALU_DEP_3)
	v_lshlrev_b32_e32 v40, 6, v37
	v_lshlrev_b32_e32 v37, 3, v37
	v_and_b32_e32 v41, 0x1f8, v38
	s_delay_alu instid0(VALU_DEP_2) | instskip(NEXT) | instid1(VALU_DEP_2)
	v_and_or_b32 v111, v38, 4, v37
	v_sub_nc_u32_e32 v40, v41, v40
	s_wait_kmcnt 0x0
	s_abs_i32 s3, s2
	s_delay_alu instid0(VALU_DEP_2) | instskip(SKIP_2) | instid1(SALU_CYCLE_2)
	v_lshlrev_b32_e32 v108, 2, v111
	s_cvt_f32_u32 s4, s3
	s_sub_co_i32 s6, 0, s3
	v_rcp_iflag_f32_e32 v1, s4
	s_load_b32 s4, s[0:1], 0x2c8
	s_delay_alu instid0(TRANS32_DEP_1) | instskip(SKIP_2) | instid1(SALU_CYCLE_2)
	v_readfirstlane_b32 s5, v1
	s_mul_f32 s5, s5, 0x4f7ffffe
	s_wait_alu 0xfffe
	s_cvt_u32_f32 s5, s5
	s_wait_kmcnt 0x0
	s_abs_i32 s7, s4
	s_xor_b32 s2, s4, s2
	s_wait_alu 0xfffe
	s_mul_i32 s6, s6, s5
	s_ashr_i32 s2, s2, 31
	s_mul_hi_u32 s6, s5, s6
	s_delay_alu instid0(SALU_CYCLE_1)
	s_add_co_i32 s5, s5, s6
	s_wait_alu 0xfffe
	s_mul_hi_u32 s5, s7, s5
	s_wait_alu 0xfffe
	s_mul_i32 s4, s5, s3
	s_add_co_i32 s6, s5, 1
	s_wait_alu 0xfffe
	s_sub_co_i32 s4, s7, s4
	s_wait_alu 0xfffe
	s_sub_co_i32 s7, s4, s3
	s_cmp_ge_u32 s4, s3
	s_cselect_b32 s5, s6, s5
	s_cselect_b32 s4, s7, s4
	s_wait_alu 0xfffe
	s_add_co_i32 s6, s5, 1
	s_cmp_ge_u32 s4, s3
	s_cselect_b32 s3, s6, s5
	s_abs_i32 s12, ttmp9
	s_xor_b32 s3, s3, s2
	s_delay_alu instid0(SALU_CYCLE_1)
	s_sub_co_i32 s4, s3, s2
	s_wait_alu 0xfffe
	s_abs_i32 s5, s4
	s_xor_b32 s4, ttmp9, s4
	s_wait_alu 0xfffe
	s_cvt_f32_u32 s2, s5
	s_sub_co_i32 s7, 0, s5
	s_ashr_i32 s47, s4, 31
	s_delay_alu instid0(SALU_CYCLE_1) | instskip(NEXT) | instid1(TRANS32_DEP_1)
	v_rcp_iflag_f32_e32 v1, s2
	v_readfirstlane_b32 s2, v1
	v_lshlrev_b32_e32 v1, 3, v0
	v_lshlrev_b32_e32 v0, 2, v0
	s_mul_f32 s6, s2, 0x4f7ffffe
	s_clause 0xc
	s_load_b64 s[28:29], s[0:1], 0xc8
	s_load_b64 s[2:3], s[0:1], 0xd4
	s_load_b32 s51, s[0:1], 0xe4
	s_load_b32 s64, s[0:1], 0xf0
	s_load_b128 s[8:11], s[0:1], 0x274
	s_load_b32 s30, s[0:1], 0x100
	s_load_b32 s26, s[0:1], 0x128
	;; [unrolled: 1-line block ×7, first 2 shown]
	s_load_b64 s[52:53], s[0:1], 0x198
	v_and_b32_e32 v21, 8, v1
	s_cvt_u32_f32 s6, s6
	v_and_or_b32 v110, v0, 4, v40
	s_delay_alu instid0(VALU_DEP_2) | instskip(NEXT) | instid1(SALU_CYCLE_1)
	v_or_b32_e32 v1, 4, v21
	s_mul_i32 s7, s7, s6
	s_delay_alu instid0(VALU_DEP_2) | instskip(SKIP_1) | instid1(SALU_CYCLE_1)
	v_lshlrev_b32_e32 v109, 2, v110
	s_mul_hi_u32 s7, s6, s7
	s_add_co_i32 s6, s6, s7
	s_delay_alu instid0(SALU_CYCLE_1)
	s_mul_hi_u32 s6, s12, s6
	s_wait_kmcnt 0x0
	v_mul_lo_u32 v22, s30, v21
	s_mul_i32 s7, s6, s5
	v_mul_lo_u32 v24, s30, v1
	s_sub_co_i32 s4, s12, s7
	s_add_co_i32 s7, s6, 1
	s_wait_alu 0xfffe
	s_sub_co_i32 s12, s4, s5
	s_cmp_ge_u32 s4, s5
	s_mul_hi_u32 s11, s11, ttmp9
	s_cselect_b32 s6, s7, s6
	s_cselect_b32 s4, s12, s4
	s_add_co_i32 s7, s6, 1
	s_wait_alu 0xfffe
	s_cmp_ge_u32 s4, s5
	v_mul_hi_u32 v1, v22, s29
	s_cselect_b32 s60, s7, s6
	s_add_co_i32 s4, ttmp9, s11
	v_mul_hi_u32 v2, v24, s29
	s_wait_alu 0xfffe
	s_lshr_b32 s61, s4, s19
	s_clause 0x1
	s_load_b32 s68, s[0:1], 0x254
	s_load_b128 s[4:7], s[0:1], 0x260
	s_mul_hi_u32 s10, s61, s10
	s_load_b32 s19, s[0:1], 0x244
	s_add_co_i32 s10, s61, s10
	s_clause 0x3
	s_load_b64 s[24:25], s[0:1], 0x94
	s_load_b64 s[34:35], s[0:1], 0xa0
	;; [unrolled: 1-line block ×4, first 2 shown]
	s_lshr_b32 s69, s10, s18
	v_add_nc_u32_e32 v1, v22, v1
	s_mul_hi_u32 s9, s69, s9
	v_add_nc_u32_e32 v2, v24, v2
	s_add_co_i32 s9, s69, s9
	s_clause 0x2
	s_load_b32 s65, s[0:1], 0x50
	s_load_b96 s[44:46], s[0:1], 0x4c
	s_load_b64 s[56:57], s[0:1], 0x74
	s_lshr_b32 s70, s9, s17
	v_lshrrev_b32_e32 v1, s3, v1
	s_mul_hi_u32 s17, s70, s8
	v_lshrrev_b32_e32 v2, s3, v2
	s_add_co_i32 s17, s70, s17
	s_load_b256 s[8:15], s[0:1], 0x0
	s_lshr_b32 s16, s17, s16
	v_mul_hi_u32 v3, v1, s28
	v_mul_hi_u32 v4, v2, s28
	s_wait_kmcnt 0x0
	s_mul_i32 s16, s16, s4
	s_mul_i32 s4, s69, s6
	s_sub_co_i32 s6, s70, s16
	s_wait_alu 0xfffe
	s_sub_co_i32 s4, s61, s4
	s_mul_i32 s6, s6, s19
	v_mul_lo_u32 v5, v1, s55
	s_wait_alu 0xfffe
	s_add_co_i32 s4, s4, s6
	v_mul_lo_u32 v6, v2, s55
	s_wait_alu 0xfffe
	s_lshl_b32 s31, s4, 7
	v_add_nc_u32_e32 v3, v1, v3
	s_wait_alu 0xfffe
	v_or_b32_e32 v25, s31, v23
	v_add_nc_u32_e32 v4, v2, v4
	s_clause 0x3
	s_load_b32 s66, s[0:1], 0x5c
	s_load_b64 s[58:59], s[0:1], 0x84
	s_load_b96 s[48:50], s[0:1], 0x58
	s_load_b256 s[16:23], s[0:1], 0x2a0
	s_mul_i32 s70, s70, s5
	v_lshrrev_b32_e32 v3, s2, v3
	v_mul_hi_u32 v7, v25, s35
	v_lshrrev_b32_e32 v26, s2, v4
	v_sub_nc_u32_e32 v4, v22, v5
	v_sub_nc_u32_e32 v27, v24, v6
	v_mul_lo_u32 v6, v3, s54
	s_mul_i32 s61, s61, s7
	v_mul_lo_u32 v8, v26, s54
	v_mul_lo_u32 v5, v4, s39
	v_add_nc_u32_e32 v7, v25, v7
	v_sub_nc_u32_e32 v4, v27, v4
	s_sub_co_i32 s5, s69, s70
	s_sub_co_i32 s6, ttmp9, s61
	v_sub_nc_u32_e32 v10, v1, v6
	v_lshrrev_b32_e32 v7, s41, v7
	v_sub_nc_u32_e32 v28, v2, v8
	v_mul_lo_u32 v6, v4, s39
	s_wait_alu 0xfffe
	s_mul_i32 s5, s5, s68
	s_wait_kmcnt 0x0
	v_mul_lo_u32 v2, v10, s58
	v_mul_hi_u32 v9, v7, s34
	s_xor_b32 s4, s60, s47
	s_wait_alu 0xfffe
	s_add_co_i32 s6, s6, s5
	v_mul_lo_u32 v17, s67, v21
	s_sub_co_i32 s60, s4, s47
	s_lshl_b32 s47, s6, 7
	v_mul_lo_u32 v1, v3, s56
	v_or_b32_e32 v29, s47, v23
	v_add_nc_u32_e32 v4, v7, v9
	v_sub_nc_u32_e32 v9, v28, v10
	s_ashr_i32 s61, s60, 31
	v_sub_nc_u32_e32 v3, v26, v3
	s_mul_u64 s[4:5], s[18:19], s[60:61]
	v_lshrrev_b32_e32 v10, s40, v4
	v_mul_lo_u32 v4, v7, s25
	s_wait_alu 0xfffe
	s_add_nc_u64 s[40:41], s[10:11], s[4:5]
	v_mul_lo_u32 v30, v3, s56
	s_wait_alu 0xfffe
	s_and_b32 s41, s41, 0xffff
	v_mul_lo_u32 v8, v10, s24
	v_mul_lo_u32 v31, v9, s58
	;; [unrolled: 1-line block ×3, first 2 shown]
	s_lshl_b32 s49, s67, 2
	v_sub_nc_u32_e32 v4, v25, v4
	s_mul_u64 s[4:5], s[16:17], s[60:61]
	v_lshlrev_b32_e32 v23, 2, v23
	s_wait_alu 0xfffe
	s_add_nc_u64 s[24:25], s[8:9], s[4:5]
	v_sub_nc_u32_e32 v11, v7, v8
	v_mad_co_u64_u32 v[7:8], null, v29, s33, v[17:18]
	v_mad_co_u64_u32 v[18:19], null, v4, s59, v[2:3]
	s_delay_alu instid0(VALU_DEP_3)
	v_mad_co_u64_u32 v[19:20], null, v11, s57, v[1:2]
	s_wait_alu 0xfffe
	s_and_b32 s25, s25, 0xffff
	v_or_b32_e32 v20, 16, v21
	buffer_load_b128 v[1:4], v7, s[40:43], null offen
	v_add_nc_u32_e32 v32, s49, v7
	v_subrev_nc_u32_e32 v8, s66, v18
	v_lshl_or_b32 v112, v21, 9, v23
	v_subrev_nc_u32_e32 v11, s65, v19
	v_mul_lo_u32 v34, s30, v20
	v_cmp_gt_i32_e64 s4, s64, v24
	v_mad_co_u64_u32 v[9:10], null, v8, s38, v[5:6]
	s_delay_alu instid0(VALU_DEP_4)
	v_mul_lo_u32 v13, v11, s37
	v_mad_co_u64_u32 v[10:11], null, v30, s37, v[6:7]
	v_mul_lo_u32 v11, v31, s38
	buffer_load_b128 v[5:8], v32, s[40:43], null offen
	v_mul_hi_u32 v20, v34, s29
	v_lshl_add_u32 v35, s30, 2, v34
	s_mul_i32 s67, s67, 12
	v_add3_u32 v9, v9, v12, v13
	s_mul_u64 s[10:11], s[22:23], s[60:61]
	v_cmp_gt_i32_e64 s6, s64, v34
	v_mul_hi_u32 v36, v35, s29
	s_add_nc_u64 s[16:17], s[14:15], s[10:11]
	v_add3_u32 v33, v10, v11, v9
	s_clause 0x1
	buffer_load_b128 v[9:12], v9, s[24:27], null offen
	buffer_load_b128 v[13:16], v33, s[24:27], null offen
	v_add_nc_u32_e32 v20, v34, v20
	v_add_nc_u32_e32 v36, v35, v36
	s_clause 0x6
	s_load_b32 s36, s[0:1], 0x1a4
	s_load_b32 s45, s[0:1], 0x1b0
	;; [unrolled: 1-line block ×3, first 2 shown]
	s_load_b64 s[34:35], s[0:1], 0x1e8
	s_load_b32 s33, s[0:1], 0x1f4
	s_load_b32 s19, s[0:1], 0x200
	;; [unrolled: 1-line block ×3, first 2 shown]
	s_mul_u64 s[0:1], s[20:21], s[60:61]
	v_cmp_le_i32_e64 s10, s66, v18
	v_lshrrev_b32_e32 v20, s3, v20
	v_lshrrev_b32_e32 v36, s3, v36
	v_cmp_gt_i32_e64 s3, s64, v22
	v_cmp_gt_i32_e64 s7, s64, v35
	;; [unrolled: 1-line block ×3, first 2 shown]
	v_mul_hi_u32 v39, v20, s28
	v_mul_lo_u32 v37, v20, s55
	v_mul_hi_u32 v41, v36, s28
	s_add_nc_u64 s[28:29], s[12:13], s[0:1]
	v_cmp_gt_i32_e64 s0, s62, v29
	s_wait_alu 0xfffe
	s_and_b32 s29, s29, 0xffff
	s_and_b32 s17, s17, 0xffff
	v_add_nc_u32_e32 v39, v20, v39
	v_sub_nc_u32_e32 v0, v34, v37
	v_add_nc_u32_e32 v23, v36, v41
	s_delay_alu instid0(VALU_DEP_3) | instskip(NEXT) | instid1(VALU_DEP_2)
	v_lshrrev_b32_e32 v39, s2, v39
	v_lshrrev_b32_e32 v37, s2, v23
	v_cmp_gt_i32_e64 s2, s51, v25
	s_delay_alu instid0(VALU_DEP_3) | instskip(SKIP_1) | instid1(VALU_DEP_1)
	v_mul_lo_u32 v21, v39, s54
	v_sub_nc_u32_e32 v26, v39, v26
	v_mul_lo_u32 v24, v26, s56
	s_delay_alu instid0(VALU_DEP_3) | instskip(NEXT) | instid1(VALU_DEP_1)
	v_sub_nc_u32_e32 v20, v20, v21
	v_sub_nc_u32_e32 v26, v20, v28
	s_delay_alu instid0(VALU_DEP_1) | instskip(SKIP_3) | instid1(VALU_DEP_1)
	v_mul_lo_u32 v26, v26, s58
	s_wait_loadcnt 0x3
	v_mad_co_u64_u32 v[21:22], null, v36, s55, v[0:1]
	v_sub_nc_u32_e32 v0, v0, v27
	v_mul_lo_u32 v0, v0, s39
	s_delay_alu instid0(VALU_DEP_3) | instskip(SKIP_2) | instid1(VALU_DEP_2)
	v_mad_co_u64_u32 v[22:23], null, v37, s54, v[20:21]
	v_sub_nc_u32_e32 v21, v35, v21
	v_sub_nc_u32_e32 v23, v37, v39
	v_mul_lo_u32 v20, v21, s39
	s_delay_alu instid0(VALU_DEP_4) | instskip(NEXT) | instid1(VALU_DEP_3)
	v_sub_nc_u32_e32 v22, v36, v22
	v_mul_lo_u32 v27, v23, s56
	s_delay_alu instid0(VALU_DEP_2) | instskip(SKIP_3) | instid1(VALU_DEP_2)
	v_mul_lo_u32 v28, v22, s58
	v_mad_co_u64_u32 v[21:22], null, v24, s37, v[0:1]
	v_add_nc_u32_e32 v0, s49, v17
	v_mul_lo_u32 v17, v26, s38
	v_cmp_gt_i32_e64 s8, s63, v0
	s_delay_alu instid0(VALU_DEP_4)
	v_mad_co_u64_u32 v[22:23], null, v27, s37, v[20:21]
	v_add_nc_u32_e32 v23, s67, v0
	s_sub_co_i32 s37, s48, s50
	v_mul_lo_u32 v20, v28, s38
	s_wait_alu 0xfffe
	v_cmp_gt_i32_e64 s9, s37, v18
	s_sub_co_i32 s38, s44, s46
	v_add_nc_u32_e32 v0, s49, v23
	v_cmp_gt_i32_e64 s1, s63, v23
	v_add_nc_u32_e32 v23, v18, v31
	s_and_b32 s9, s9, s3
	v_add3_u32 v17, v21, v17, v33
	s_and_b32 s12, s9, s10
	v_cmp_gt_i32_e32 vcc_lo, s63, v0
	v_add_nc_u32_e32 v18, v23, v26
	v_cmp_gt_i32_e64 s11, s37, v23
	v_cmp_le_i32_e64 s3, s66, v23
	v_add_nc_u32_e32 v0, s67, v32
	s_and_b32 s1, s1, s0
	v_add_nc_u32_e32 v23, v18, v28
	v_cmp_gt_i32_e64 s9, s37, v18
	s_and_b32 s10, s11, s4
	v_cmp_le_i32_e64 s4, s66, v18
	v_add_nc_u32_e32 v18, v19, v30
	s_and_b32 s11, s10, s3
	v_cmp_gt_i32_e64 s3, s37, v23
	s_and_b32 s13, s9, s6
	v_cmp_le_i32_e64 s6, s66, v23
	v_cmp_le_i32_e64 s9, s65, v19
	s_wait_alu 0xfffe
	v_cmp_gt_i32_e64 s10, s38, v19
	v_add_nc_u32_e32 v19, v18, v24
	s_and_b32 s3, s3, s7
	s_and_b32 s13, s13, s4
	s_wait_alu 0xfffe
	s_and_b32 s14, s3, s6
	v_cmp_le_i32_e64 s3, s65, v18
	v_cmp_gt_i32_e64 s4, s38, v18
	v_cmp_le_i32_e64 s6, s65, v19
	v_cmp_gt_i32_e64 s7, s38, v19
	s_and_b32 s15, s9, s10
	v_add3_u32 v18, v22, v20, v17
	s_and_b32 s3, s3, s4
	s_and_b32 s12, s12, s15
	s_wait_alu 0xfffe
	s_and_b32 s11, s11, s3
	s_and_b32 s3, s6, s7
	v_add_nc_u32_e32 v25, s49, v0
	s_wait_alu 0xfffe
	s_and_b32 s4, s13, s3
	s_and_b32 s3, s5, s0
	v_add_nc_u32_e32 v23, v19, v27
	s_wait_alu 0xfffe
	v_cndmask_b32_e64 v4, 0, v4, s3
	v_cndmask_b32_e64 v3, 0, v3, s3
	;; [unrolled: 1-line block ×4, first 2 shown]
	s_and_b32 s3, s8, s0
	ds_store_2addr_stride64_b32 v112, v1, v2 offset0:64 offset1:66
	ds_store_2addr_stride64_b32 v112, v3, v4 offset0:68 offset1:70
	s_wait_loadcnt 0x2
	s_wait_alu 0xfffe
	v_cndmask_b32_e64 v6, 0, v6, s3
	v_cndmask_b32_e64 v5, 0, v5, s3
	v_cndmask_b32_e64 v8, 0, v8, s3
	v_cndmask_b32_e64 v1, 0, v7, s3
	s_and_b32 s3, s2, s12
	v_cmp_le_i32_e64 s9, s65, v23
	ds_store_2addr_stride64_b32 v112, v5, v6 offset0:72 offset1:74
	s_wait_loadcnt 0x1
	s_wait_alu 0xfffe
	v_cndmask_b32_e64 v2, 0, v12, s3
	v_cndmask_b32_e64 v3, 0, v11, s3
	;; [unrolled: 1-line block ×4, first 2 shown]
	s_and_b32 s3, s2, s11
	v_cmp_gt_i32_e64 s10, s38, v23
	s_wait_loadcnt 0x0
	s_wait_alu 0xfffe
	v_cndmask_b32_e64 v7, 0, v14, s3
	v_cndmask_b32_e64 v9, 0, v13, s3
	;; [unrolled: 1-line block ×4, first 2 shown]
	ds_store_2addr_stride64_b32 v112, v1, v8 offset0:76 offset1:78
	ds_store_2addr_stride64_b32 v112, v5, v4 offset1:2
	ds_store_2addr_stride64_b32 v112, v3, v2 offset0:4 offset1:6
	ds_store_2addr_stride64_b32 v112, v9, v7 offset0:8 offset1:10
	;; [unrolled: 1-line block ×3, first 2 shown]
	s_wait_dscnt 0x0
	s_barrier_signal -1
	s_barrier_wait -1
	s_clause 0x1
	buffer_load_b128 v[8:11], v17, s[24:27], null offen
	buffer_load_b128 v[12:15], v18, s[24:27], null offen
	s_clause 0x1
	buffer_load_b128 v[4:7], v0, s[40:43], null offen
	buffer_load_b128 v[0:3], v25, s[40:43], null offen
	ds_load_b128 v[113:116], v109 offset:16384
	ds_load_b128 v[117:120], v109 offset:16640
	ds_load_b128 v[121:124], v108
	ds_load_b128 v[125:128], v108 offset:256
	ds_load_b128 v[84:87], v109 offset:16896
	;; [unrolled: 1-line block ×25, first 2 shown]
	s_wait_dscnt 0x19
	v_dot4_i32_iu8 v133, v121, v113, 0 neg_lo:[1,1,0]
	v_dot4_i32_iu8 v134, v121, v114, 0 neg_lo:[1,1,0]
	v_dot4_i32_iu8 v135, v121, v115, 0 neg_lo:[1,1,0]
	v_dot4_i32_iu8 v136, v121, v116, 0 neg_lo:[1,1,0]
	v_dot4_i32_iu8 v137, v122, v113, 0 neg_lo:[1,1,0]
	v_dot4_i32_iu8 v138, v122, v114, 0 neg_lo:[1,1,0]
	v_dot4_i32_iu8 v139, v122, v115, 0 neg_lo:[1,1,0]
	v_dot4_i32_iu8 v140, v122, v116, 0 neg_lo:[1,1,0]
	v_dot4_i32_iu8 v141, v123, v113, 0 neg_lo:[1,1,0]
	v_dot4_i32_iu8 v142, v123, v114, 0 neg_lo:[1,1,0]
	v_dot4_i32_iu8 v143, v123, v115, 0 neg_lo:[1,1,0]
	v_dot4_i32_iu8 v144, v123, v116, 0 neg_lo:[1,1,0]
	v_dot4_i32_iu8 v145, v124, v113, 0 neg_lo:[1,1,0]
	v_dot4_i32_iu8 v146, v124, v114, 0 neg_lo:[1,1,0]
	v_dot4_i32_iu8 v147, v124, v115, 0 neg_lo:[1,1,0]
	v_dot4_i32_iu8 v148, v124, v116, 0 neg_lo:[1,1,0]
	v_dot4_i32_iu8 v149, v121, v117, 0 neg_lo:[1,1,0]
	v_dot4_i32_iu8 v150, v121, v118, 0 neg_lo:[1,1,0]
	v_dot4_i32_iu8 v151, v121, v119, 0 neg_lo:[1,1,0]
	v_dot4_i32_iu8 v121, v121, v120, 0 neg_lo:[1,1,0]
	v_dot4_i32_iu8 v152, v122, v117, 0 neg_lo:[1,1,0]
	v_dot4_i32_iu8 v153, v122, v118, 0 neg_lo:[1,1,0]
	v_dot4_i32_iu8 v154, v122, v119, 0 neg_lo:[1,1,0]
	v_dot4_i32_iu8 v122, v122, v120, 0 neg_lo:[1,1,0]
	v_dot4_i32_iu8 v155, v123, v117, 0 neg_lo:[1,1,0]
	v_dot4_i32_iu8 v156, v123, v118, 0 neg_lo:[1,1,0]
	v_dot4_i32_iu8 v157, v123, v119, 0 neg_lo:[1,1,0]
	v_dot4_i32_iu8 v123, v123, v120, 0 neg_lo:[1,1,0]
	v_dot4_i32_iu8 v158, v124, v117, 0 neg_lo:[1,1,0]
	v_dot4_i32_iu8 v159, v124, v118, 0 neg_lo:[1,1,0]
	v_dot4_i32_iu8 v160, v124, v119, 0 neg_lo:[1,1,0]
	v_dot4_i32_iu8 v124, v124, v120, 0 neg_lo:[1,1,0]
	s_wait_dscnt 0x18
	v_dot4_i32_iu8 v161, v125, v113, 0 neg_lo:[1,1,0]
	v_dot4_i32_iu8 v162, v125, v114, 0 neg_lo:[1,1,0]
	v_dot4_i32_iu8 v163, v125, v115, 0 neg_lo:[1,1,0]
	v_dot4_i32_iu8 v164, v125, v116, 0 neg_lo:[1,1,0]
	v_dot4_i32_iu8 v165, v126, v113, 0 neg_lo:[1,1,0]
	v_dot4_i32_iu8 v166, v126, v114, 0 neg_lo:[1,1,0]
	v_dot4_i32_iu8 v167, v126, v115, 0 neg_lo:[1,1,0]
	v_dot4_i32_iu8 v168, v126, v116, 0 neg_lo:[1,1,0]
	v_dot4_i32_iu8 v169, v127, v113, 0 neg_lo:[1,1,0]
	v_dot4_i32_iu8 v170, v127, v114, 0 neg_lo:[1,1,0]
	v_dot4_i32_iu8 v171, v127, v115, 0 neg_lo:[1,1,0]
	v_dot4_i32_iu8 v172, v127, v116, 0 neg_lo:[1,1,0]
	v_dot4_i32_iu8 v173, v128, v113, 0 neg_lo:[1,1,0]
	v_dot4_i32_iu8 v174, v128, v114, 0 neg_lo:[1,1,0]
	v_dot4_i32_iu8 v175, v128, v115, 0 neg_lo:[1,1,0]
	v_dot4_i32_iu8 v176, v128, v116, 0 neg_lo:[1,1,0]
	v_dot4_i32_iu8 v177, v125, v117, 0 neg_lo:[1,1,0]
	v_dot4_i32_iu8 v178, v125, v118, 0 neg_lo:[1,1,0]
	v_dot4_i32_iu8 v179, v125, v119, 0 neg_lo:[1,1,0]
	v_dot4_i32_iu8 v125, v125, v120, 0 neg_lo:[1,1,0]
	v_dot4_i32_iu8 v180, v126, v117, 0 neg_lo:[1,1,0]
	v_dot4_i32_iu8 v181, v126, v118, 0 neg_lo:[1,1,0]
	v_dot4_i32_iu8 v182, v126, v119, 0 neg_lo:[1,1,0]
	v_dot4_i32_iu8 v126, v126, v120, 0 neg_lo:[1,1,0]
	v_dot4_i32_iu8 v183, v127, v117, 0 neg_lo:[1,1,0]
	v_dot4_i32_iu8 v184, v127, v118, 0 neg_lo:[1,1,0]
	v_dot4_i32_iu8 v185, v127, v119, 0 neg_lo:[1,1,0]
	v_dot4_i32_iu8 v127, v127, v120, 0 neg_lo:[1,1,0]
	v_dot4_i32_iu8 v186, v128, v117, 0 neg_lo:[1,1,0]
	v_dot4_i32_iu8 v187, v128, v118, 0 neg_lo:[1,1,0]
	v_dot4_i32_iu8 v188, v128, v119, 0 neg_lo:[1,1,0]
	v_dot4_i32_iu8 v128, v128, v120, 0 neg_lo:[1,1,0]
	;; [unrolled: 33-line block ×6, first 2 shown]
	ds_load_b128 v[113:116], v109 offset:19968
	ds_load_b128 v[117:120], v109 offset:20224
	s_wait_dscnt 0xf
	v_dot4_i32_iu8 v27, v76, v28, v133 neg_lo:[1,1,0]
	v_dot4_i32_iu8 v127, v76, v29, v134 neg_lo:[1,1,0]
	;; [unrolled: 1-line block ×32, first 2 shown]
	s_wait_dscnt 0xe
	v_dot4_i32_iu8 v124, v36, v28, v132 neg_lo:[1,1,0]
	v_dot4_i32_iu8 v132, v36, v29, v158 neg_lo:[1,1,0]
	v_dot4_i32_iu8 v152, v36, v30, v159 neg_lo:[1,1,0]
	v_dot4_i32_iu8 v153, v36, v31, v160 neg_lo:[1,1,0]
	v_dot4_i32_iu8 v154, v37, v28, v161 neg_lo:[1,1,0]
	v_dot4_i32_iu8 v155, v37, v29, v162 neg_lo:[1,1,0]
	v_dot4_i32_iu8 v156, v37, v30, v163 neg_lo:[1,1,0]
	v_dot4_i32_iu8 v16, v39, v28, v16 neg_lo:[1,1,0]
	v_dot4_i32_iu8 v17, v39, v29, v17 neg_lo:[1,1,0]
	v_dot4_i32_iu8 v18, v39, v30, v18 neg_lo:[1,1,0]
	v_dot4_i32_iu8 v19, v39, v31, v19 neg_lo:[1,1,0]
	v_dot4_i32_iu8 v20, v39, v32, v20 neg_lo:[1,1,0]
	v_dot4_i32_iu8 v21, v39, v33, v21 neg_lo:[1,1,0]
	v_dot4_i32_iu8 v22, v39, v34, v22 neg_lo:[1,1,0]
	v_dot4_i32_iu8 v23, v39, v35, v23 neg_lo:[1,1,0]
	ds_load_b128 v[84:87], v108 offset:3584
	ds_load_b128 v[88:91], v108 offset:3840
	;; [unrolled: 1-line block ×3, first 2 shown]
	v_dot4_i32_iu8 v157, v37, v31, v164 neg_lo:[1,1,0]
	v_dot4_i32_iu8 v158, v38, v28, v165 neg_lo:[1,1,0]
	v_dot4_i32_iu8 v159, v38, v29, v166 neg_lo:[1,1,0]
	v_dot4_i32_iu8 v160, v38, v30, v167 neg_lo:[1,1,0]
	v_dot4_i32_iu8 v161, v38, v31, v168 neg_lo:[1,1,0]
	v_dot4_i32_iu8 v28, v36, v32, v169 neg_lo:[1,1,0]
	v_dot4_i32_iu8 v29, v36, v33, v170 neg_lo:[1,1,0]
	v_dot4_i32_iu8 v30, v36, v34, v171 neg_lo:[1,1,0]
	v_dot4_i32_iu8 v24, v36, v35, v24 neg_lo:[1,1,0]
	v_dot4_i32_iu8 v31, v37, v32, v125 neg_lo:[1,1,0]
	v_dot4_i32_iu8 v36, v37, v33, v172 neg_lo:[1,1,0]
	v_dot4_i32_iu8 v125, v37, v34, v173 neg_lo:[1,1,0]
	v_dot4_i32_iu8 v25, v37, v35, v25 neg_lo:[1,1,0]
	v_dot4_i32_iu8 v37, v38, v32, v126 neg_lo:[1,1,0]
	v_dot4_i32_iu8 v126, v38, v33, v174 neg_lo:[1,1,0]
	v_dot4_i32_iu8 v162, v38, v34, v175 neg_lo:[1,1,0]
	v_dot4_i32_iu8 v26, v38, v35, v26 neg_lo:[1,1,0]
	s_wait_dscnt 0xe
	v_dot4_i32_iu8 v27, v80, v40, v27 neg_lo:[1,1,0]
	v_dot4_i32_iu8 v32, v80, v41, v127 neg_lo:[1,1,0]
	v_dot4_i32_iu8 v33, v80, v42, v128 neg_lo:[1,1,0]
	v_dot4_i32_iu8 v34, v80, v43, v133 neg_lo:[1,1,0]
	v_dot4_i32_iu8 v35, v81, v40, v134 neg_lo:[1,1,0]
	v_dot4_i32_iu8 v38, v81, v41, v135 neg_lo:[1,1,0]
	v_dot4_i32_iu8 v39, v81, v42, v136 neg_lo:[1,1,0]
	v_dot4_i32_iu8 v127, v81, v43, v137 neg_lo:[1,1,0]
	v_dot4_i32_iu8 v128, v82, v40, v138 neg_lo:[1,1,0]
	v_dot4_i32_iu8 v133, v82, v41, v139 neg_lo:[1,1,0]
	v_dot4_i32_iu8 v134, v82, v42, v140 neg_lo:[1,1,0]
	v_dot4_i32_iu8 v135, v82, v43, v141 neg_lo:[1,1,0]
	v_dot4_i32_iu8 v136, v83, v40, v142 neg_lo:[1,1,0]
	v_dot4_i32_iu8 v137, v83, v41, v143 neg_lo:[1,1,0]
	v_dot4_i32_iu8 v138, v83, v42, v144 neg_lo:[1,1,0]
	v_dot4_i32_iu8 v139, v83, v43, v145 neg_lo:[1,1,0]
	v_dot4_i32_iu8 v140, v80, v44, v146 neg_lo:[1,1,0]
	v_dot4_i32_iu8 v141, v80, v45, v147 neg_lo:[1,1,0]
	v_dot4_i32_iu8 v142, v80, v46, v148 neg_lo:[1,1,0]
	v_dot4_i32_iu8 v76, v80, v47, v76 neg_lo:[1,1,0]
	v_dot4_i32_iu8 v80, v81, v44, v121 neg_lo:[1,1,0]
	v_dot4_i32_iu8 v121, v81, v45, v129 neg_lo:[1,1,0]
	v_dot4_i32_iu8 v129, v81, v46, v149 neg_lo:[1,1,0]
	v_dot4_i32_iu8 v77, v81, v47, v77 neg_lo:[1,1,0]
	v_dot4_i32_iu8 v81, v82, v44, v122 neg_lo:[1,1,0]
	v_dot4_i32_iu8 v122, v82, v45, v130 neg_lo:[1,1,0]
	v_dot4_i32_iu8 v130, v82, v46, v150 neg_lo:[1,1,0]
	v_dot4_i32_iu8 v78, v82, v47, v78 neg_lo:[1,1,0]
	v_dot4_i32_iu8 v82, v83, v44, v123 neg_lo:[1,1,0]
	v_dot4_i32_iu8 v123, v83, v45, v131 neg_lo:[1,1,0]
	v_dot4_i32_iu8 v131, v83, v46, v151 neg_lo:[1,1,0]
	v_dot4_i32_iu8 v79, v83, v47, v79 neg_lo:[1,1,0]
	s_wait_dscnt 0xd
	v_dot4_i32_iu8 v83, v48, v40, v124 neg_lo:[1,1,0]
	v_dot4_i32_iu8 v124, v48, v41, v132 neg_lo:[1,1,0]
	v_dot4_i32_iu8 v132, v48, v42, v152 neg_lo:[1,1,0]
	v_dot4_i32_iu8 v143, v48, v43, v153 neg_lo:[1,1,0]
	v_dot4_i32_iu8 v144, v49, v40, v154 neg_lo:[1,1,0]
	v_dot4_i32_iu8 v145, v49, v41, v155 neg_lo:[1,1,0]
	v_dot4_i32_iu8 v146, v49, v42, v156 neg_lo:[1,1,0]
	v_dot4_i32_iu8 v16, v51, v40, v16 neg_lo:[1,1,0]
	v_dot4_i32_iu8 v17, v51, v41, v17 neg_lo:[1,1,0]
	v_dot4_i32_iu8 v18, v51, v42, v18 neg_lo:[1,1,0]
	v_dot4_i32_iu8 v19, v51, v43, v19 neg_lo:[1,1,0]
	v_dot4_i32_iu8 v20, v51, v44, v20 neg_lo:[1,1,0]
	v_dot4_i32_iu8 v21, v51, v45, v21 neg_lo:[1,1,0]
	v_dot4_i32_iu8 v22, v51, v46, v22 neg_lo:[1,1,0]
	v_dot4_i32_iu8 v23, v51, v47, v23 neg_lo:[1,1,0]
	;; [unrolled: 33-line block ×4, first 2 shown]
	v_dot4_i32_iu8 v132, v61, v55, v147 neg_lo:[1,1,0]
	v_dot4_i32_iu8 v133, v62, v52, v148 neg_lo:[1,1,0]
	v_dot4_i32_iu8 v134, v62, v53, v149 neg_lo:[1,1,0]
	v_dot4_i32_iu8 v135, v62, v54, v150 neg_lo:[1,1,0]
	v_dot4_i32_iu8 v136, v62, v55, v151 neg_lo:[1,1,0]
	v_dot4_i32_iu8 v28, v60, v56, v28 neg_lo:[1,1,0]
	v_dot4_i32_iu8 v29, v60, v57, v29 neg_lo:[1,1,0]
	v_dot4_i32_iu8 v30, v60, v58, v30 neg_lo:[1,1,0]
	v_dot4_i32_iu8 v24, v60, v59, v24 neg_lo:[1,1,0]
	v_dot4_i32_iu8 v31, v61, v56, v31 neg_lo:[1,1,0]
	v_dot4_i32_iu8 v36, v61, v57, v36 neg_lo:[1,1,0]
	v_dot4_i32_iu8 v40, v61, v58, v40 neg_lo:[1,1,0]
	v_dot4_i32_iu8 v25, v61, v59, v25 neg_lo:[1,1,0]
	v_dot4_i32_iu8 v37, v62, v56, v37 neg_lo:[1,1,0]
	v_dot4_i32_iu8 v41, v62, v57, v41 neg_lo:[1,1,0]
	v_dot4_i32_iu8 v42, v62, v58, v42 neg_lo:[1,1,0]
	v_dot4_i32_iu8 v26, v62, v59, v26 neg_lo:[1,1,0]
	s_wait_dscnt 0x6
	v_dot4_i32_iu8 v55, v104, v71, v76 neg_lo:[1,1,0]
	v_dot4_i32_iu8 v56, v105, v68, v80 neg_lo:[1,1,0]
	;; [unrolled: 1-line block ×8, first 2 shown]
	s_wait_dscnt 0x5
	v_dot4_i32_iu8 v80, v72, v64, v83 neg_lo:[1,1,0]
	v_dot4_i32_iu8 v81, v72, v65, v95 neg_lo:[1,1,0]
	;; [unrolled: 1-line block ×15, first 2 shown]
	ds_load_b128 v[100:103], v109 offset:20480
	v_dot4_i32_iu8 v27, v104, v64, v27 neg_lo:[1,1,0]
	v_dot4_i32_iu8 v32, v104, v65, v32 neg_lo:[1,1,0]
	;; [unrolled: 1-line block ×41, first 2 shown]
	s_wait_dscnt 0x2
	v_dot4_i32_iu8 v68, v88, v113, v80 neg_lo:[1,1,0]
	v_dot4_i32_iu8 v69, v88, v114, v81 neg_lo:[1,1,0]
	;; [unrolled: 1-line block ×13, first 2 shown]
	ds_load_b128 v[16:19], v109 offset:20736
	v_dot4_i32_iu8 v94, v91, v119, v22 neg_lo:[1,1,0]
	v_dot4_i32_iu8 v91, v91, v120, v23 neg_lo:[1,1,0]
	ds_load_b128 v[20:23], v108 offset:4352
	v_dot4_i32_iu8 v27, v84, v113, v27 neg_lo:[1,1,0]
	v_dot4_i32_iu8 v32, v84, v114, v32 neg_lo:[1,1,0]
	;; [unrolled: 1-line block ×49, first 2 shown]
	s_wait_dscnt 0x2
	v_dot4_i32_iu8 v95, v96, v100, v27 neg_lo:[1,1,0]
	v_dot4_i32_iu8 v104, v96, v101, v32 neg_lo:[1,1,0]
	v_dot4_i32_iu8 v105, v96, v102, v33 neg_lo:[1,1,0]
	v_dot4_i32_iu8 v106, v96, v103, v34 neg_lo:[1,1,0]
	v_dot4_i32_iu8 v107, v97, v100, v35 neg_lo:[1,1,0]
	s_wait_dscnt 0x1
	v_dot4_i32_iu8 v52, v96, v16, v52 neg_lo:[1,1,0]
	v_dot4_i32_iu8 v53, v96, v17, v53 neg_lo:[1,1,0]
	v_dot4_i32_iu8 v54, v96, v18, v54 neg_lo:[1,1,0]
	v_dot4_i32_iu8 v55, v96, v19, v55 neg_lo:[1,1,0]
	v_dot4_i32_iu8 v56, v97, v16, v56 neg_lo:[1,1,0]
	v_dot4_i32_iu8 v57, v97, v17, v57 neg_lo:[1,1,0]
	v_dot4_i32_iu8 v58, v97, v18, v58 neg_lo:[1,1,0]
	v_dot4_i32_iu8 v59, v97, v19, v59 neg_lo:[1,1,0]
	v_dot4_i32_iu8 v60, v98, v16, v60 neg_lo:[1,1,0]
	v_dot4_i32_iu8 v61, v98, v17, v61 neg_lo:[1,1,0]
	v_dot4_i32_iu8 v62, v98, v18, v62 neg_lo:[1,1,0]
	v_dot4_i32_iu8 v63, v98, v19, v63 neg_lo:[1,1,0]
	v_dot4_i32_iu8 v64, v99, v16, v64 neg_lo:[1,1,0]
	v_dot4_i32_iu8 v65, v99, v17, v65 neg_lo:[1,1,0]
	v_dot4_i32_iu8 v66, v99, v18, v66 neg_lo:[1,1,0]
	v_dot4_i32_iu8 v67, v99, v19, v67 neg_lo:[1,1,0]
	ds_load_b128 v[24:27], v108 offset:4608
	ds_load_b128 v[28:31], v109 offset:20992
	ds_load_b128 v[32:35], v109 offset:21248
	s_wait_dscnt 0x3
	v_dot4_i32_iu8 v84, v20, v16, v84 neg_lo:[1,1,0]
	v_dot4_i32_iu8 v85, v20, v17, v85 neg_lo:[1,1,0]
	;; [unrolled: 1-line block ×16, first 2 shown]
	ds_load_b128 v[16:19], v108 offset:4864
	v_dot4_i32_iu8 v38, v97, v101, v38 neg_lo:[1,1,0]
	v_dot4_i32_iu8 v39, v97, v102, v39 neg_lo:[1,1,0]
	;; [unrolled: 1-line block ×27, first 2 shown]
	s_wait_dscnt 0x2
	v_dot4_i32_iu8 v95, v24, v28, v95 neg_lo:[1,1,0]
	v_dot4_i32_iu8 v96, v24, v29, v104 neg_lo:[1,1,0]
	;; [unrolled: 1-line block ×16, first 2 shown]
	s_wait_dscnt 0x1
	v_dot4_i32_iu8 v52, v24, v32, v52 neg_lo:[1,1,0]
	v_dot4_i32_iu8 v53, v24, v33, v53 neg_lo:[1,1,0]
	;; [unrolled: 1-line block ×16, first 2 shown]
	ds_load_b128 v[20:23], v108 offset:5120
	s_wait_dscnt 0x1
	v_dot4_i32_iu8 v68, v16, v28, v68 neg_lo:[1,1,0]
	v_dot4_i32_iu8 v69, v16, v29, v69 neg_lo:[1,1,0]
	;; [unrolled: 1-line block ×15, first 2 shown]
	ds_load_b128 v[24:27], v109 offset:21504
	v_dot4_i32_iu8 v83, v19, v31, v83 neg_lo:[1,1,0]
	v_dot4_i32_iu8 v84, v16, v32, v84 neg_lo:[1,1,0]
	;; [unrolled: 1-line block ×15, first 2 shown]
	ds_load_b128 v[28:31], v109 offset:21760
	v_dot4_i32_iu8 v94, v19, v34, v94 neg_lo:[1,1,0]
	v_dot4_i32_iu8 v91, v19, v35, v91 neg_lo:[1,1,0]
	ds_load_b128 v[16:19], v108 offset:5376
	s_wait_dscnt 0x2
	v_dot4_i32_iu8 v95, v20, v24, v95 neg_lo:[1,1,0]
	v_dot4_i32_iu8 v96, v20, v25, v96 neg_lo:[1,1,0]
	;; [unrolled: 1-line block ×16, first 2 shown]
	s_wait_dscnt 0x1
	v_dot4_i32_iu8 v52, v20, v28, v52 neg_lo:[1,1,0]
	v_dot4_i32_iu8 v53, v20, v29, v53 neg_lo:[1,1,0]
	;; [unrolled: 1-line block ×16, first 2 shown]
	ds_load_b128 v[20:23], v108 offset:5632
	s_wait_dscnt 0x1
	v_dot4_i32_iu8 v68, v16, v24, v68 neg_lo:[1,1,0]
	v_dot4_i32_iu8 v69, v16, v25, v69 neg_lo:[1,1,0]
	;; [unrolled: 1-line block ×15, first 2 shown]
	ds_load_b128 v[32:35], v109 offset:22016
	v_dot4_i32_iu8 v83, v19, v27, v83 neg_lo:[1,1,0]
	v_dot4_i32_iu8 v84, v16, v28, v84 neg_lo:[1,1,0]
	;; [unrolled: 1-line block ×15, first 2 shown]
	ds_load_b128 v[24:27], v109 offset:22272
	v_dot4_i32_iu8 v94, v19, v30, v94 neg_lo:[1,1,0]
	v_dot4_i32_iu8 v91, v19, v31, v91 neg_lo:[1,1,0]
	ds_load_b128 v[16:19], v108 offset:5888
	s_wait_dscnt 0x2
	v_dot4_i32_iu8 v95, v20, v32, v95 neg_lo:[1,1,0]
	v_dot4_i32_iu8 v96, v20, v33, v96 neg_lo:[1,1,0]
	;; [unrolled: 1-line block ×16, first 2 shown]
	s_wait_dscnt 0x1
	v_dot4_i32_iu8 v52, v20, v24, v52 neg_lo:[1,1,0]
	v_dot4_i32_iu8 v53, v20, v25, v53 neg_lo:[1,1,0]
	;; [unrolled: 1-line block ×16, first 2 shown]
	ds_load_b128 v[20:23], v108 offset:6144
	s_wait_dscnt 0x1
	v_dot4_i32_iu8 v68, v16, v32, v68 neg_lo:[1,1,0]
	v_dot4_i32_iu8 v69, v16, v33, v69 neg_lo:[1,1,0]
	;; [unrolled: 1-line block ×15, first 2 shown]
	ds_load_b128 v[28:31], v109 offset:22528
	v_dot4_i32_iu8 v83, v19, v35, v83 neg_lo:[1,1,0]
	v_dot4_i32_iu8 v84, v16, v24, v84 neg_lo:[1,1,0]
	;; [unrolled: 1-line block ×15, first 2 shown]
	ds_load_b128 v[32:35], v109 offset:22784
	v_dot4_i32_iu8 v94, v19, v26, v94 neg_lo:[1,1,0]
	v_dot4_i32_iu8 v91, v19, v27, v91 neg_lo:[1,1,0]
	ds_load_b128 v[16:19], v108 offset:6400
	s_wait_dscnt 0x2
	v_dot4_i32_iu8 v95, v20, v28, v95 neg_lo:[1,1,0]
	v_dot4_i32_iu8 v96, v20, v29, v96 neg_lo:[1,1,0]
	v_dot4_i32_iu8 v97, v20, v30, v97 neg_lo:[1,1,0]
	v_dot4_i32_iu8 v98, v20, v31, v98 neg_lo:[1,1,0]
	v_dot4_i32_iu8 v99, v21, v28, v99 neg_lo:[1,1,0]
	v_dot4_i32_iu8 v38, v21, v29, v38 neg_lo:[1,1,0]
	v_dot4_i32_iu8 v39, v21, v30, v39 neg_lo:[1,1,0]
	v_dot4_i32_iu8 v43, v21, v31, v43 neg_lo:[1,1,0]
	v_dot4_i32_iu8 v44, v22, v28, v44 neg_lo:[1,1,0]
	v_dot4_i32_iu8 v45, v22, v29, v45 neg_lo:[1,1,0]
	v_dot4_i32_iu8 v46, v22, v30, v46 neg_lo:[1,1,0]
	v_dot4_i32_iu8 v47, v22, v31, v47 neg_lo:[1,1,0]
	v_dot4_i32_iu8 v48, v23, v28, v48 neg_lo:[1,1,0]
	v_dot4_i32_iu8 v49, v23, v29, v49 neg_lo:[1,1,0]
	v_dot4_i32_iu8 v50, v23, v30, v50 neg_lo:[1,1,0]
	v_dot4_i32_iu8 v51, v23, v31, v51 neg_lo:[1,1,0]
	s_wait_dscnt 0x1
	v_dot4_i32_iu8 v52, v20, v32, v52 neg_lo:[1,1,0]
	v_dot4_i32_iu8 v53, v20, v33, v53 neg_lo:[1,1,0]
	;; [unrolled: 1-line block ×16, first 2 shown]
	ds_load_b128 v[20:23], v108 offset:6656
	s_wait_dscnt 0x1
	v_dot4_i32_iu8 v68, v16, v28, v68 neg_lo:[1,1,0]
	v_dot4_i32_iu8 v69, v16, v29, v69 neg_lo:[1,1,0]
	;; [unrolled: 1-line block ×15, first 2 shown]
	ds_load_b128 v[24:27], v109 offset:23040
	v_dot4_i32_iu8 v83, v19, v31, v83 neg_lo:[1,1,0]
	v_dot4_i32_iu8 v84, v16, v32, v84 neg_lo:[1,1,0]
	;; [unrolled: 1-line block ×15, first 2 shown]
	ds_load_b128 v[28:31], v109 offset:23296
	v_dot4_i32_iu8 v94, v19, v34, v94 neg_lo:[1,1,0]
	v_dot4_i32_iu8 v91, v19, v35, v91 neg_lo:[1,1,0]
	ds_load_b128 v[16:19], v108 offset:6912
	s_wait_dscnt 0x2
	v_dot4_i32_iu8 v95, v20, v24, v95 neg_lo:[1,1,0]
	v_dot4_i32_iu8 v96, v20, v25, v96 neg_lo:[1,1,0]
	;; [unrolled: 1-line block ×16, first 2 shown]
	s_wait_dscnt 0x1
	v_dot4_i32_iu8 v52, v20, v28, v52 neg_lo:[1,1,0]
	v_dot4_i32_iu8 v53, v20, v29, v53 neg_lo:[1,1,0]
	;; [unrolled: 1-line block ×16, first 2 shown]
	ds_load_b128 v[20:23], v108 offset:7168
	s_wait_dscnt 0x1
	v_dot4_i32_iu8 v68, v16, v24, v68 neg_lo:[1,1,0]
	v_dot4_i32_iu8 v69, v16, v25, v69 neg_lo:[1,1,0]
	;; [unrolled: 1-line block ×15, first 2 shown]
	ds_load_b128 v[32:35], v109 offset:23552
	v_dot4_i32_iu8 v83, v19, v27, v83 neg_lo:[1,1,0]
	v_dot4_i32_iu8 v84, v16, v28, v84 neg_lo:[1,1,0]
	;; [unrolled: 1-line block ×15, first 2 shown]
	ds_load_b128 v[24:27], v109 offset:23808
	v_dot4_i32_iu8 v94, v19, v30, v94 neg_lo:[1,1,0]
	v_dot4_i32_iu8 v91, v19, v31, v91 neg_lo:[1,1,0]
	ds_load_b128 v[16:19], v108 offset:7424
	s_and_b32 s6, s9, s10
	s_wait_dscnt 0x2
	v_dot4_i32_iu8 v95, v20, v32, v95 neg_lo:[1,1,0]
	s_and_b32 s6, s14, s6
	v_dot4_i32_iu8 v96, v20, v33, v96 neg_lo:[1,1,0]
	s_and_b32 s3, s2, s6
	s_and_b32 s2, s2, s4
	s_wait_loadcnt 0x2
	s_wait_alu 0xfffe
	v_cndmask_b32_e64 v15, 0, v15, s3
	v_cndmask_b32_e64 v14, 0, v14, s3
	v_dot4_i32_iu8 v97, v20, v34, v97 neg_lo:[1,1,0]
	v_dot4_i32_iu8 v98, v20, v35, v98 neg_lo:[1,1,0]
	v_dot4_i32_iu8 v99, v21, v32, v99 neg_lo:[1,1,0]
	v_dot4_i32_iu8 v38, v21, v33, v38 neg_lo:[1,1,0]
	v_dot4_i32_iu8 v39, v21, v34, v39 neg_lo:[1,1,0]
	v_dot4_i32_iu8 v43, v21, v35, v43 neg_lo:[1,1,0]
	v_dot4_i32_iu8 v44, v22, v32, v44 neg_lo:[1,1,0]
	v_dot4_i32_iu8 v45, v22, v33, v45 neg_lo:[1,1,0]
	v_dot4_i32_iu8 v46, v22, v34, v46 neg_lo:[1,1,0]
	v_dot4_i32_iu8 v47, v22, v35, v47 neg_lo:[1,1,0]
	v_dot4_i32_iu8 v48, v23, v32, v48 neg_lo:[1,1,0]
	v_dot4_i32_iu8 v49, v23, v33, v49 neg_lo:[1,1,0]
	v_dot4_i32_iu8 v50, v23, v34, v50 neg_lo:[1,1,0]
	v_dot4_i32_iu8 v51, v23, v35, v51 neg_lo:[1,1,0]
	s_wait_dscnt 0x1
	v_dot4_i32_iu8 v52, v20, v24, v52 neg_lo:[1,1,0]
	v_dot4_i32_iu8 v53, v20, v25, v53 neg_lo:[1,1,0]
	;; [unrolled: 1-line block ×16, first 2 shown]
	ds_load_b128 v[20:23], v108 offset:7680
	s_wait_dscnt 0x1
	v_dot4_i32_iu8 v68, v16, v32, v68 neg_lo:[1,1,0]
	v_dot4_i32_iu8 v69, v16, v33, v69 neg_lo:[1,1,0]
	;; [unrolled: 1-line block ×15, first 2 shown]
	ds_load_b128 v[28:31], v109 offset:24064
	v_dot4_i32_iu8 v83, v19, v35, v83 neg_lo:[1,1,0]
	v_dot4_i32_iu8 v84, v16, v24, v84 neg_lo:[1,1,0]
	;; [unrolled: 1-line block ×15, first 2 shown]
	ds_load_b128 v[32:35], v109 offset:24320
	v_dot4_i32_iu8 v26, v19, v26, v94 neg_lo:[1,1,0]
	v_dot4_i32_iu8 v27, v19, v27, v91 neg_lo:[1,1,0]
	ds_load_b128 v[16:19], v108 offset:7936
	v_cndmask_b32_e64 v9, 0, v9, s2
	v_cndmask_b32_e64 v8, 0, v8, s2
	;; [unrolled: 1-line block ×4, first 2 shown]
	s_wait_loadcnt 0x1
	v_cndmask_b32_e64 v5, 0, v5, s1
	v_cndmask_b32_e64 v4, 0, v4, s1
	s_and_b32 vcc_lo, vcc_lo, s0
	v_cndmask_b32_e64 v13, 0, v13, s3
	v_cndmask_b32_e64 v12, 0, v12, s3
	;; [unrolled: 1-line block ×4, first 2 shown]
	s_wait_loadcnt 0x0
	v_dual_cndmask_b32 v1, 0, v1 :: v_dual_cndmask_b32 v0, 0, v0
	v_dual_cndmask_b32 v3, 0, v3 :: v_dual_cndmask_b32 v2, 0, v2
	ds_store_2addr_stride64_b32 v112, v8, v9 offset0:32 offset1:34
	ds_store_2addr_stride64_b32 v112, v10, v11 offset0:36 offset1:38
	;; [unrolled: 1-line block ×8, first 2 shown]
	s_wait_dscnt 0x0
	s_barrier_signal -1
	s_barrier_wait -1
	ds_load_b128 v[0:3], v108 offset:8192
	ds_load_b128 v[4:7], v109 offset:24576
	;; [unrolled: 1-line block ×4, first 2 shown]
	v_dot4_i32_iu8 v91, v20, v28, v95 neg_lo:[1,1,0]
	v_dot4_i32_iu8 v92, v20, v29, v96 neg_lo:[1,1,0]
	;; [unrolled: 1-line block ×64, first 2 shown]
	s_wait_dscnt 0x2
	v_dot4_i32_iu8 v32, v0, v4, v91 neg_lo:[1,1,0]
	v_dot4_i32_iu8 v33, v0, v5, v92 neg_lo:[1,1,0]
	;; [unrolled: 1-line block ×16, first 2 shown]
	ds_load_b128 v[16:19], v109 offset:25088
	s_wait_dscnt 0x2
	v_dot4_i32_iu8 v52, v0, v8, v52 neg_lo:[1,1,0]
	v_dot4_i32_iu8 v53, v0, v9, v53 neg_lo:[1,1,0]
	;; [unrolled: 1-line block ×16, first 2 shown]
	ds_load_b128 v[0:3], v108 offset:8704
	s_wait_dscnt 0x2
	v_dot4_i32_iu8 v64, v12, v4, v64 neg_lo:[1,1,0]
	v_dot4_i32_iu8 v65, v12, v5, v65 neg_lo:[1,1,0]
	;; [unrolled: 1-line block ×30, first 2 shown]
	ds_load_b128 v[4:7], v109 offset:25344
	v_dot4_i32_iu8 v26, v15, v10, v26 neg_lo:[1,1,0]
	v_dot4_i32_iu8 v27, v15, v11, v27 neg_lo:[1,1,0]
	ds_load_b128 v[8:11], v108 offset:8960
	s_wait_dscnt 0x2
	v_dot4_i32_iu8 v32, v0, v16, v32 neg_lo:[1,1,0]
	v_dot4_i32_iu8 v33, v0, v17, v33 neg_lo:[1,1,0]
	v_dot4_i32_iu8 v34, v0, v18, v34 neg_lo:[1,1,0]
	v_dot4_i32_iu8 v35, v0, v19, v35 neg_lo:[1,1,0]
	v_dot4_i32_iu8 v83, v1, v16, v83 neg_lo:[1,1,0]
	v_dot4_i32_iu8 v38, v1, v17, v38 neg_lo:[1,1,0]
	v_dot4_i32_iu8 v39, v1, v18, v39 neg_lo:[1,1,0]
	v_dot4_i32_iu8 v43, v1, v19, v43 neg_lo:[1,1,0]
	v_dot4_i32_iu8 v44, v2, v16, v44 neg_lo:[1,1,0]
	v_dot4_i32_iu8 v45, v2, v17, v45 neg_lo:[1,1,0]
	v_dot4_i32_iu8 v46, v2, v18, v46 neg_lo:[1,1,0]
	v_dot4_i32_iu8 v47, v2, v19, v47 neg_lo:[1,1,0]
	v_dot4_i32_iu8 v48, v3, v16, v48 neg_lo:[1,1,0]
	v_dot4_i32_iu8 v49, v3, v17, v49 neg_lo:[1,1,0]
	v_dot4_i32_iu8 v50, v3, v18, v50 neg_lo:[1,1,0]
	v_dot4_i32_iu8 v51, v3, v19, v51 neg_lo:[1,1,0]
	ds_load_b128 v[12:15], v109 offset:25600
	s_wait_dscnt 0x2
	v_dot4_i32_iu8 v52, v0, v4, v52 neg_lo:[1,1,0]
	v_dot4_i32_iu8 v53, v0, v5, v53 neg_lo:[1,1,0]
	v_dot4_i32_iu8 v54, v0, v6, v54 neg_lo:[1,1,0]
	v_dot4_i32_iu8 v20, v0, v7, v20 neg_lo:[1,1,0]
	v_dot4_i32_iu8 v55, v1, v4, v55 neg_lo:[1,1,0]
	v_dot4_i32_iu8 v56, v1, v5, v56 neg_lo:[1,1,0]
	v_dot4_i32_iu8 v57, v1, v6, v57 neg_lo:[1,1,0]
	v_dot4_i32_iu8 v21, v1, v7, v21 neg_lo:[1,1,0]
	v_dot4_i32_iu8 v58, v2, v4, v58 neg_lo:[1,1,0]
	v_dot4_i32_iu8 v59, v2, v5, v59 neg_lo:[1,1,0]
	v_dot4_i32_iu8 v60, v2, v6, v60 neg_lo:[1,1,0]
	v_dot4_i32_iu8 v22, v2, v7, v22 neg_lo:[1,1,0]
	v_dot4_i32_iu8 v61, v3, v4, v61 neg_lo:[1,1,0]
	v_dot4_i32_iu8 v62, v3, v5, v62 neg_lo:[1,1,0]
	;; [unrolled: 18-line block ×3, first 2 shown]
	v_dot4_i32_iu8 v30, v11, v18, v30 neg_lo:[1,1,0]
	v_dot4_i32_iu8 v31, v11, v19, v31 neg_lo:[1,1,0]
	v_dot4_i32_iu8 v76, v8, v4, v76 neg_lo:[1,1,0]
	v_dot4_i32_iu8 v77, v8, v5, v77 neg_lo:[1,1,0]
	v_dot4_i32_iu8 v78, v8, v6, v78 neg_lo:[1,1,0]
	v_dot4_i32_iu8 v79, v8, v7, v79 neg_lo:[1,1,0]
	v_dot4_i32_iu8 v80, v9, v4, v80 neg_lo:[1,1,0]
	v_dot4_i32_iu8 v36, v9, v5, v36 neg_lo:[1,1,0]
	v_dot4_i32_iu8 v40, v9, v6, v40 neg_lo:[1,1,0]
	v_dot4_i32_iu8 v81, v9, v7, v81 neg_lo:[1,1,0]
	v_dot4_i32_iu8 v37, v10, v4, v37 neg_lo:[1,1,0]
	v_dot4_i32_iu8 v41, v10, v5, v41 neg_lo:[1,1,0]
	v_dot4_i32_iu8 v42, v10, v6, v42 neg_lo:[1,1,0]
	v_dot4_i32_iu8 v82, v10, v7, v82 neg_lo:[1,1,0]
	v_dot4_i32_iu8 v24, v11, v4, v24 neg_lo:[1,1,0]
	v_dot4_i32_iu8 v25, v11, v5, v25 neg_lo:[1,1,0]
	ds_load_b128 v[16:19], v109 offset:25856
	v_dot4_i32_iu8 v26, v11, v6, v26 neg_lo:[1,1,0]
	v_dot4_i32_iu8 v27, v11, v7, v27 neg_lo:[1,1,0]
	ds_load_b128 v[4:7], v108 offset:9472
	s_wait_dscnt 0x2
	v_dot4_i32_iu8 v32, v0, v12, v32 neg_lo:[1,1,0]
	v_dot4_i32_iu8 v33, v0, v13, v33 neg_lo:[1,1,0]
	v_dot4_i32_iu8 v34, v0, v14, v34 neg_lo:[1,1,0]
	v_dot4_i32_iu8 v35, v0, v15, v35 neg_lo:[1,1,0]
	v_dot4_i32_iu8 v83, v1, v12, v83 neg_lo:[1,1,0]
	v_dot4_i32_iu8 v38, v1, v13, v38 neg_lo:[1,1,0]
	v_dot4_i32_iu8 v39, v1, v14, v39 neg_lo:[1,1,0]
	v_dot4_i32_iu8 v43, v1, v15, v43 neg_lo:[1,1,0]
	v_dot4_i32_iu8 v44, v2, v12, v44 neg_lo:[1,1,0]
	v_dot4_i32_iu8 v45, v2, v13, v45 neg_lo:[1,1,0]
	v_dot4_i32_iu8 v46, v2, v14, v46 neg_lo:[1,1,0]
	v_dot4_i32_iu8 v47, v2, v15, v47 neg_lo:[1,1,0]
	v_dot4_i32_iu8 v48, v3, v12, v48 neg_lo:[1,1,0]
	v_dot4_i32_iu8 v49, v3, v13, v49 neg_lo:[1,1,0]
	v_dot4_i32_iu8 v50, v3, v14, v50 neg_lo:[1,1,0]
	v_dot4_i32_iu8 v51, v3, v15, v51 neg_lo:[1,1,0]
	ds_load_b128 v[8:11], v109 offset:26112
	s_wait_dscnt 0x2
	v_dot4_i32_iu8 v52, v0, v16, v52 neg_lo:[1,1,0]
	v_dot4_i32_iu8 v53, v0, v17, v53 neg_lo:[1,1,0]
	v_dot4_i32_iu8 v54, v0, v18, v54 neg_lo:[1,1,0]
	v_dot4_i32_iu8 v20, v0, v19, v20 neg_lo:[1,1,0]
	v_dot4_i32_iu8 v55, v1, v16, v55 neg_lo:[1,1,0]
	v_dot4_i32_iu8 v56, v1, v17, v56 neg_lo:[1,1,0]
	v_dot4_i32_iu8 v57, v1, v18, v57 neg_lo:[1,1,0]
	v_dot4_i32_iu8 v21, v1, v19, v21 neg_lo:[1,1,0]
	v_dot4_i32_iu8 v58, v2, v16, v58 neg_lo:[1,1,0]
	v_dot4_i32_iu8 v59, v2, v17, v59 neg_lo:[1,1,0]
	v_dot4_i32_iu8 v60, v2, v18, v60 neg_lo:[1,1,0]
	v_dot4_i32_iu8 v22, v2, v19, v22 neg_lo:[1,1,0]
	v_dot4_i32_iu8 v61, v3, v16, v61 neg_lo:[1,1,0]
	v_dot4_i32_iu8 v62, v3, v17, v62 neg_lo:[1,1,0]
	;; [unrolled: 18-line block ×3, first 2 shown]
	v_dot4_i32_iu8 v30, v7, v14, v30 neg_lo:[1,1,0]
	v_dot4_i32_iu8 v31, v7, v15, v31 neg_lo:[1,1,0]
	v_dot4_i32_iu8 v76, v4, v16, v76 neg_lo:[1,1,0]
	v_dot4_i32_iu8 v77, v4, v17, v77 neg_lo:[1,1,0]
	v_dot4_i32_iu8 v78, v4, v18, v78 neg_lo:[1,1,0]
	v_dot4_i32_iu8 v79, v4, v19, v79 neg_lo:[1,1,0]
	v_dot4_i32_iu8 v80, v5, v16, v80 neg_lo:[1,1,0]
	v_dot4_i32_iu8 v36, v5, v17, v36 neg_lo:[1,1,0]
	v_dot4_i32_iu8 v40, v5, v18, v40 neg_lo:[1,1,0]
	v_dot4_i32_iu8 v81, v5, v19, v81 neg_lo:[1,1,0]
	v_dot4_i32_iu8 v37, v6, v16, v37 neg_lo:[1,1,0]
	v_dot4_i32_iu8 v41, v6, v17, v41 neg_lo:[1,1,0]
	v_dot4_i32_iu8 v42, v6, v18, v42 neg_lo:[1,1,0]
	v_dot4_i32_iu8 v82, v6, v19, v82 neg_lo:[1,1,0]
	v_dot4_i32_iu8 v24, v7, v16, v24 neg_lo:[1,1,0]
	v_dot4_i32_iu8 v25, v7, v17, v25 neg_lo:[1,1,0]
	ds_load_b128 v[12:15], v109 offset:26368
	v_dot4_i32_iu8 v26, v7, v18, v26 neg_lo:[1,1,0]
	v_dot4_i32_iu8 v27, v7, v19, v27 neg_lo:[1,1,0]
	ds_load_b128 v[4:7], v108 offset:9984
	s_wait_dscnt 0x2
	v_dot4_i32_iu8 v32, v0, v8, v32 neg_lo:[1,1,0]
	v_dot4_i32_iu8 v33, v0, v9, v33 neg_lo:[1,1,0]
	v_dot4_i32_iu8 v34, v0, v10, v34 neg_lo:[1,1,0]
	v_dot4_i32_iu8 v35, v0, v11, v35 neg_lo:[1,1,0]
	v_dot4_i32_iu8 v83, v1, v8, v83 neg_lo:[1,1,0]
	v_dot4_i32_iu8 v38, v1, v9, v38 neg_lo:[1,1,0]
	v_dot4_i32_iu8 v39, v1, v10, v39 neg_lo:[1,1,0]
	v_dot4_i32_iu8 v43, v1, v11, v43 neg_lo:[1,1,0]
	v_dot4_i32_iu8 v44, v2, v8, v44 neg_lo:[1,1,0]
	v_dot4_i32_iu8 v45, v2, v9, v45 neg_lo:[1,1,0]
	v_dot4_i32_iu8 v46, v2, v10, v46 neg_lo:[1,1,0]
	v_dot4_i32_iu8 v47, v2, v11, v47 neg_lo:[1,1,0]
	v_dot4_i32_iu8 v48, v3, v8, v48 neg_lo:[1,1,0]
	v_dot4_i32_iu8 v49, v3, v9, v49 neg_lo:[1,1,0]
	v_dot4_i32_iu8 v50, v3, v10, v50 neg_lo:[1,1,0]
	v_dot4_i32_iu8 v51, v3, v11, v51 neg_lo:[1,1,0]
	ds_load_b128 v[16:19], v109 offset:26624
	s_wait_dscnt 0x2
	v_dot4_i32_iu8 v52, v0, v12, v52 neg_lo:[1,1,0]
	v_dot4_i32_iu8 v53, v0, v13, v53 neg_lo:[1,1,0]
	v_dot4_i32_iu8 v54, v0, v14, v54 neg_lo:[1,1,0]
	v_dot4_i32_iu8 v20, v0, v15, v20 neg_lo:[1,1,0]
	v_dot4_i32_iu8 v55, v1, v12, v55 neg_lo:[1,1,0]
	v_dot4_i32_iu8 v56, v1, v13, v56 neg_lo:[1,1,0]
	v_dot4_i32_iu8 v57, v1, v14, v57 neg_lo:[1,1,0]
	v_dot4_i32_iu8 v21, v1, v15, v21 neg_lo:[1,1,0]
	v_dot4_i32_iu8 v58, v2, v12, v58 neg_lo:[1,1,0]
	v_dot4_i32_iu8 v59, v2, v13, v59 neg_lo:[1,1,0]
	v_dot4_i32_iu8 v60, v2, v14, v60 neg_lo:[1,1,0]
	v_dot4_i32_iu8 v22, v2, v15, v22 neg_lo:[1,1,0]
	v_dot4_i32_iu8 v61, v3, v12, v61 neg_lo:[1,1,0]
	v_dot4_i32_iu8 v62, v3, v13, v62 neg_lo:[1,1,0]
	;; [unrolled: 18-line block ×3, first 2 shown]
	v_dot4_i32_iu8 v30, v7, v10, v30 neg_lo:[1,1,0]
	v_dot4_i32_iu8 v31, v7, v11, v31 neg_lo:[1,1,0]
	;; [unrolled: 1-line block ×16, first 2 shown]
	ds_load_b128 v[8:11], v109 offset:26880
	v_dot4_i32_iu8 v26, v7, v14, v26 neg_lo:[1,1,0]
	v_dot4_i32_iu8 v27, v7, v15, v27 neg_lo:[1,1,0]
	ds_load_b128 v[4:7], v108 offset:10496
	s_wait_dscnt 0x2
	v_dot4_i32_iu8 v32, v0, v16, v32 neg_lo:[1,1,0]
	v_dot4_i32_iu8 v33, v0, v17, v33 neg_lo:[1,1,0]
	v_dot4_i32_iu8 v34, v0, v18, v34 neg_lo:[1,1,0]
	v_dot4_i32_iu8 v35, v0, v19, v35 neg_lo:[1,1,0]
	v_dot4_i32_iu8 v83, v1, v16, v83 neg_lo:[1,1,0]
	v_dot4_i32_iu8 v38, v1, v17, v38 neg_lo:[1,1,0]
	v_dot4_i32_iu8 v39, v1, v18, v39 neg_lo:[1,1,0]
	v_dot4_i32_iu8 v43, v1, v19, v43 neg_lo:[1,1,0]
	v_dot4_i32_iu8 v44, v2, v16, v44 neg_lo:[1,1,0]
	v_dot4_i32_iu8 v45, v2, v17, v45 neg_lo:[1,1,0]
	v_dot4_i32_iu8 v46, v2, v18, v46 neg_lo:[1,1,0]
	v_dot4_i32_iu8 v47, v2, v19, v47 neg_lo:[1,1,0]
	v_dot4_i32_iu8 v48, v3, v16, v48 neg_lo:[1,1,0]
	v_dot4_i32_iu8 v49, v3, v17, v49 neg_lo:[1,1,0]
	v_dot4_i32_iu8 v50, v3, v18, v50 neg_lo:[1,1,0]
	v_dot4_i32_iu8 v51, v3, v19, v51 neg_lo:[1,1,0]
	ds_load_b128 v[12:15], v109 offset:27136
	s_wait_dscnt 0x2
	v_dot4_i32_iu8 v52, v0, v8, v52 neg_lo:[1,1,0]
	v_dot4_i32_iu8 v53, v0, v9, v53 neg_lo:[1,1,0]
	v_dot4_i32_iu8 v54, v0, v10, v54 neg_lo:[1,1,0]
	v_dot4_i32_iu8 v20, v0, v11, v20 neg_lo:[1,1,0]
	v_dot4_i32_iu8 v55, v1, v8, v55 neg_lo:[1,1,0]
	v_dot4_i32_iu8 v56, v1, v9, v56 neg_lo:[1,1,0]
	v_dot4_i32_iu8 v57, v1, v10, v57 neg_lo:[1,1,0]
	v_dot4_i32_iu8 v21, v1, v11, v21 neg_lo:[1,1,0]
	v_dot4_i32_iu8 v58, v2, v8, v58 neg_lo:[1,1,0]
	v_dot4_i32_iu8 v59, v2, v9, v59 neg_lo:[1,1,0]
	v_dot4_i32_iu8 v60, v2, v10, v60 neg_lo:[1,1,0]
	v_dot4_i32_iu8 v22, v2, v11, v22 neg_lo:[1,1,0]
	v_dot4_i32_iu8 v61, v3, v8, v61 neg_lo:[1,1,0]
	v_dot4_i32_iu8 v62, v3, v9, v62 neg_lo:[1,1,0]
	;; [unrolled: 18-line block ×3, first 2 shown]
	v_dot4_i32_iu8 v30, v7, v18, v30 neg_lo:[1,1,0]
	v_dot4_i32_iu8 v31, v7, v19, v31 neg_lo:[1,1,0]
	;; [unrolled: 1-line block ×16, first 2 shown]
	ds_load_b128 v[16:19], v109 offset:27392
	v_dot4_i32_iu8 v26, v7, v10, v26 neg_lo:[1,1,0]
	v_dot4_i32_iu8 v27, v7, v11, v27 neg_lo:[1,1,0]
	ds_load_b128 v[4:7], v108 offset:11008
	s_wait_dscnt 0x2
	v_dot4_i32_iu8 v32, v0, v12, v32 neg_lo:[1,1,0]
	v_dot4_i32_iu8 v33, v0, v13, v33 neg_lo:[1,1,0]
	v_dot4_i32_iu8 v34, v0, v14, v34 neg_lo:[1,1,0]
	v_dot4_i32_iu8 v35, v0, v15, v35 neg_lo:[1,1,0]
	v_dot4_i32_iu8 v83, v1, v12, v83 neg_lo:[1,1,0]
	v_dot4_i32_iu8 v38, v1, v13, v38 neg_lo:[1,1,0]
	v_dot4_i32_iu8 v39, v1, v14, v39 neg_lo:[1,1,0]
	v_dot4_i32_iu8 v43, v1, v15, v43 neg_lo:[1,1,0]
	v_dot4_i32_iu8 v44, v2, v12, v44 neg_lo:[1,1,0]
	v_dot4_i32_iu8 v45, v2, v13, v45 neg_lo:[1,1,0]
	v_dot4_i32_iu8 v46, v2, v14, v46 neg_lo:[1,1,0]
	v_dot4_i32_iu8 v47, v2, v15, v47 neg_lo:[1,1,0]
	v_dot4_i32_iu8 v48, v3, v12, v48 neg_lo:[1,1,0]
	v_dot4_i32_iu8 v49, v3, v13, v49 neg_lo:[1,1,0]
	v_dot4_i32_iu8 v50, v3, v14, v50 neg_lo:[1,1,0]
	v_dot4_i32_iu8 v51, v3, v15, v51 neg_lo:[1,1,0]
	ds_load_b128 v[8:11], v109 offset:27648
	s_wait_dscnt 0x2
	v_dot4_i32_iu8 v52, v0, v16, v52 neg_lo:[1,1,0]
	v_dot4_i32_iu8 v53, v0, v17, v53 neg_lo:[1,1,0]
	v_dot4_i32_iu8 v54, v0, v18, v54 neg_lo:[1,1,0]
	v_dot4_i32_iu8 v20, v0, v19, v20 neg_lo:[1,1,0]
	v_dot4_i32_iu8 v55, v1, v16, v55 neg_lo:[1,1,0]
	v_dot4_i32_iu8 v56, v1, v17, v56 neg_lo:[1,1,0]
	v_dot4_i32_iu8 v57, v1, v18, v57 neg_lo:[1,1,0]
	v_dot4_i32_iu8 v21, v1, v19, v21 neg_lo:[1,1,0]
	v_dot4_i32_iu8 v58, v2, v16, v58 neg_lo:[1,1,0]
	v_dot4_i32_iu8 v59, v2, v17, v59 neg_lo:[1,1,0]
	v_dot4_i32_iu8 v60, v2, v18, v60 neg_lo:[1,1,0]
	v_dot4_i32_iu8 v22, v2, v19, v22 neg_lo:[1,1,0]
	v_dot4_i32_iu8 v61, v3, v16, v61 neg_lo:[1,1,0]
	v_dot4_i32_iu8 v62, v3, v17, v62 neg_lo:[1,1,0]
	;; [unrolled: 18-line block ×3, first 2 shown]
	v_dot4_i32_iu8 v30, v7, v14, v30 neg_lo:[1,1,0]
	v_dot4_i32_iu8 v31, v7, v15, v31 neg_lo:[1,1,0]
	;; [unrolled: 1-line block ×16, first 2 shown]
	ds_load_b128 v[12:15], v109 offset:27904
	v_dot4_i32_iu8 v26, v7, v18, v26 neg_lo:[1,1,0]
	v_dot4_i32_iu8 v27, v7, v19, v27 neg_lo:[1,1,0]
	ds_load_b128 v[4:7], v108 offset:11520
	s_wait_dscnt 0x2
	v_dot4_i32_iu8 v32, v0, v8, v32 neg_lo:[1,1,0]
	v_dot4_i32_iu8 v33, v0, v9, v33 neg_lo:[1,1,0]
	v_dot4_i32_iu8 v34, v0, v10, v34 neg_lo:[1,1,0]
	v_dot4_i32_iu8 v35, v0, v11, v35 neg_lo:[1,1,0]
	v_dot4_i32_iu8 v83, v1, v8, v83 neg_lo:[1,1,0]
	v_dot4_i32_iu8 v38, v1, v9, v38 neg_lo:[1,1,0]
	v_dot4_i32_iu8 v39, v1, v10, v39 neg_lo:[1,1,0]
	v_dot4_i32_iu8 v43, v1, v11, v43 neg_lo:[1,1,0]
	v_dot4_i32_iu8 v44, v2, v8, v44 neg_lo:[1,1,0]
	v_dot4_i32_iu8 v45, v2, v9, v45 neg_lo:[1,1,0]
	v_dot4_i32_iu8 v46, v2, v10, v46 neg_lo:[1,1,0]
	v_dot4_i32_iu8 v47, v2, v11, v47 neg_lo:[1,1,0]
	v_dot4_i32_iu8 v48, v3, v8, v48 neg_lo:[1,1,0]
	v_dot4_i32_iu8 v49, v3, v9, v49 neg_lo:[1,1,0]
	v_dot4_i32_iu8 v50, v3, v10, v50 neg_lo:[1,1,0]
	v_dot4_i32_iu8 v51, v3, v11, v51 neg_lo:[1,1,0]
	ds_load_b128 v[16:19], v109 offset:28160
	s_wait_dscnt 0x2
	v_dot4_i32_iu8 v52, v0, v12, v52 neg_lo:[1,1,0]
	v_dot4_i32_iu8 v53, v0, v13, v53 neg_lo:[1,1,0]
	v_dot4_i32_iu8 v54, v0, v14, v54 neg_lo:[1,1,0]
	v_dot4_i32_iu8 v20, v0, v15, v20 neg_lo:[1,1,0]
	v_dot4_i32_iu8 v55, v1, v12, v55 neg_lo:[1,1,0]
	v_dot4_i32_iu8 v56, v1, v13, v56 neg_lo:[1,1,0]
	v_dot4_i32_iu8 v57, v1, v14, v57 neg_lo:[1,1,0]
	v_dot4_i32_iu8 v21, v1, v15, v21 neg_lo:[1,1,0]
	v_dot4_i32_iu8 v58, v2, v12, v58 neg_lo:[1,1,0]
	v_dot4_i32_iu8 v59, v2, v13, v59 neg_lo:[1,1,0]
	v_dot4_i32_iu8 v60, v2, v14, v60 neg_lo:[1,1,0]
	v_dot4_i32_iu8 v22, v2, v15, v22 neg_lo:[1,1,0]
	v_dot4_i32_iu8 v61, v3, v12, v61 neg_lo:[1,1,0]
	v_dot4_i32_iu8 v62, v3, v13, v62 neg_lo:[1,1,0]
	;; [unrolled: 18-line block ×3, first 2 shown]
	v_dot4_i32_iu8 v30, v7, v10, v30 neg_lo:[1,1,0]
	v_dot4_i32_iu8 v31, v7, v11, v31 neg_lo:[1,1,0]
	;; [unrolled: 1-line block ×16, first 2 shown]
	ds_load_b128 v[8:11], v109 offset:28416
	v_dot4_i32_iu8 v26, v7, v14, v26 neg_lo:[1,1,0]
	v_dot4_i32_iu8 v27, v7, v15, v27 neg_lo:[1,1,0]
	ds_load_b128 v[4:7], v108 offset:12032
	s_wait_dscnt 0x2
	v_dot4_i32_iu8 v32, v0, v16, v32 neg_lo:[1,1,0]
	v_dot4_i32_iu8 v33, v0, v17, v33 neg_lo:[1,1,0]
	v_dot4_i32_iu8 v34, v0, v18, v34 neg_lo:[1,1,0]
	v_dot4_i32_iu8 v35, v0, v19, v35 neg_lo:[1,1,0]
	v_dot4_i32_iu8 v83, v1, v16, v83 neg_lo:[1,1,0]
	v_dot4_i32_iu8 v38, v1, v17, v38 neg_lo:[1,1,0]
	v_dot4_i32_iu8 v39, v1, v18, v39 neg_lo:[1,1,0]
	v_dot4_i32_iu8 v43, v1, v19, v43 neg_lo:[1,1,0]
	v_dot4_i32_iu8 v44, v2, v16, v44 neg_lo:[1,1,0]
	v_dot4_i32_iu8 v45, v2, v17, v45 neg_lo:[1,1,0]
	v_dot4_i32_iu8 v46, v2, v18, v46 neg_lo:[1,1,0]
	v_dot4_i32_iu8 v47, v2, v19, v47 neg_lo:[1,1,0]
	v_dot4_i32_iu8 v48, v3, v16, v48 neg_lo:[1,1,0]
	v_dot4_i32_iu8 v49, v3, v17, v49 neg_lo:[1,1,0]
	v_dot4_i32_iu8 v50, v3, v18, v50 neg_lo:[1,1,0]
	v_dot4_i32_iu8 v51, v3, v19, v51 neg_lo:[1,1,0]
	ds_load_b128 v[12:15], v109 offset:28672
	s_wait_dscnt 0x2
	v_dot4_i32_iu8 v52, v0, v8, v52 neg_lo:[1,1,0]
	v_dot4_i32_iu8 v53, v0, v9, v53 neg_lo:[1,1,0]
	v_dot4_i32_iu8 v54, v0, v10, v54 neg_lo:[1,1,0]
	v_dot4_i32_iu8 v20, v0, v11, v20 neg_lo:[1,1,0]
	v_dot4_i32_iu8 v55, v1, v8, v55 neg_lo:[1,1,0]
	v_dot4_i32_iu8 v56, v1, v9, v56 neg_lo:[1,1,0]
	v_dot4_i32_iu8 v57, v1, v10, v57 neg_lo:[1,1,0]
	v_dot4_i32_iu8 v21, v1, v11, v21 neg_lo:[1,1,0]
	v_dot4_i32_iu8 v58, v2, v8, v58 neg_lo:[1,1,0]
	v_dot4_i32_iu8 v59, v2, v9, v59 neg_lo:[1,1,0]
	v_dot4_i32_iu8 v60, v2, v10, v60 neg_lo:[1,1,0]
	v_dot4_i32_iu8 v22, v2, v11, v22 neg_lo:[1,1,0]
	v_dot4_i32_iu8 v61, v3, v8, v61 neg_lo:[1,1,0]
	v_dot4_i32_iu8 v62, v3, v9, v62 neg_lo:[1,1,0]
	;; [unrolled: 18-line block ×3, first 2 shown]
	v_dot4_i32_iu8 v30, v7, v18, v30 neg_lo:[1,1,0]
	v_dot4_i32_iu8 v31, v7, v19, v31 neg_lo:[1,1,0]
	;; [unrolled: 1-line block ×16, first 2 shown]
	ds_load_b128 v[16:19], v109 offset:28928
	v_dot4_i32_iu8 v26, v7, v10, v26 neg_lo:[1,1,0]
	v_dot4_i32_iu8 v27, v7, v11, v27 neg_lo:[1,1,0]
	ds_load_b128 v[4:7], v108 offset:12544
	s_wait_dscnt 0x2
	v_dot4_i32_iu8 v32, v0, v12, v32 neg_lo:[1,1,0]
	v_dot4_i32_iu8 v33, v0, v13, v33 neg_lo:[1,1,0]
	v_dot4_i32_iu8 v34, v0, v14, v34 neg_lo:[1,1,0]
	v_dot4_i32_iu8 v35, v0, v15, v35 neg_lo:[1,1,0]
	v_dot4_i32_iu8 v83, v1, v12, v83 neg_lo:[1,1,0]
	v_dot4_i32_iu8 v38, v1, v13, v38 neg_lo:[1,1,0]
	v_dot4_i32_iu8 v39, v1, v14, v39 neg_lo:[1,1,0]
	v_dot4_i32_iu8 v43, v1, v15, v43 neg_lo:[1,1,0]
	v_dot4_i32_iu8 v44, v2, v12, v44 neg_lo:[1,1,0]
	v_dot4_i32_iu8 v45, v2, v13, v45 neg_lo:[1,1,0]
	v_dot4_i32_iu8 v46, v2, v14, v46 neg_lo:[1,1,0]
	v_dot4_i32_iu8 v47, v2, v15, v47 neg_lo:[1,1,0]
	v_dot4_i32_iu8 v48, v3, v12, v48 neg_lo:[1,1,0]
	v_dot4_i32_iu8 v49, v3, v13, v49 neg_lo:[1,1,0]
	v_dot4_i32_iu8 v50, v3, v14, v50 neg_lo:[1,1,0]
	v_dot4_i32_iu8 v51, v3, v15, v51 neg_lo:[1,1,0]
	ds_load_b128 v[8:11], v109 offset:29184
	s_wait_dscnt 0x2
	v_dot4_i32_iu8 v52, v0, v16, v52 neg_lo:[1,1,0]
	v_dot4_i32_iu8 v53, v0, v17, v53 neg_lo:[1,1,0]
	v_dot4_i32_iu8 v54, v0, v18, v54 neg_lo:[1,1,0]
	v_dot4_i32_iu8 v20, v0, v19, v20 neg_lo:[1,1,0]
	v_dot4_i32_iu8 v55, v1, v16, v55 neg_lo:[1,1,0]
	v_dot4_i32_iu8 v56, v1, v17, v56 neg_lo:[1,1,0]
	v_dot4_i32_iu8 v57, v1, v18, v57 neg_lo:[1,1,0]
	v_dot4_i32_iu8 v21, v1, v19, v21 neg_lo:[1,1,0]
	v_dot4_i32_iu8 v58, v2, v16, v58 neg_lo:[1,1,0]
	v_dot4_i32_iu8 v59, v2, v17, v59 neg_lo:[1,1,0]
	v_dot4_i32_iu8 v60, v2, v18, v60 neg_lo:[1,1,0]
	v_dot4_i32_iu8 v22, v2, v19, v22 neg_lo:[1,1,0]
	v_dot4_i32_iu8 v61, v3, v16, v61 neg_lo:[1,1,0]
	v_dot4_i32_iu8 v62, v3, v17, v62 neg_lo:[1,1,0]
	;; [unrolled: 18-line block ×3, first 2 shown]
	v_dot4_i32_iu8 v30, v7, v14, v30 neg_lo:[1,1,0]
	v_dot4_i32_iu8 v31, v7, v15, v31 neg_lo:[1,1,0]
	;; [unrolled: 1-line block ×16, first 2 shown]
	ds_load_b128 v[12:15], v109 offset:29440
	v_dot4_i32_iu8 v26, v7, v18, v26 neg_lo:[1,1,0]
	v_dot4_i32_iu8 v27, v7, v19, v27 neg_lo:[1,1,0]
	ds_load_b128 v[4:7], v108 offset:13056
	s_wait_dscnt 0x2
	v_dot4_i32_iu8 v32, v0, v8, v32 neg_lo:[1,1,0]
	v_dot4_i32_iu8 v33, v0, v9, v33 neg_lo:[1,1,0]
	v_dot4_i32_iu8 v34, v0, v10, v34 neg_lo:[1,1,0]
	v_dot4_i32_iu8 v35, v0, v11, v35 neg_lo:[1,1,0]
	v_dot4_i32_iu8 v83, v1, v8, v83 neg_lo:[1,1,0]
	v_dot4_i32_iu8 v38, v1, v9, v38 neg_lo:[1,1,0]
	v_dot4_i32_iu8 v39, v1, v10, v39 neg_lo:[1,1,0]
	v_dot4_i32_iu8 v43, v1, v11, v43 neg_lo:[1,1,0]
	v_dot4_i32_iu8 v44, v2, v8, v44 neg_lo:[1,1,0]
	v_dot4_i32_iu8 v45, v2, v9, v45 neg_lo:[1,1,0]
	v_dot4_i32_iu8 v46, v2, v10, v46 neg_lo:[1,1,0]
	v_dot4_i32_iu8 v47, v2, v11, v47 neg_lo:[1,1,0]
	v_dot4_i32_iu8 v48, v3, v8, v48 neg_lo:[1,1,0]
	v_dot4_i32_iu8 v49, v3, v9, v49 neg_lo:[1,1,0]
	v_dot4_i32_iu8 v50, v3, v10, v50 neg_lo:[1,1,0]
	v_dot4_i32_iu8 v51, v3, v11, v51 neg_lo:[1,1,0]
	ds_load_b128 v[16:19], v109 offset:29696
	s_wait_dscnt 0x2
	v_dot4_i32_iu8 v52, v0, v12, v52 neg_lo:[1,1,0]
	v_dot4_i32_iu8 v53, v0, v13, v53 neg_lo:[1,1,0]
	v_dot4_i32_iu8 v54, v0, v14, v54 neg_lo:[1,1,0]
	v_dot4_i32_iu8 v20, v0, v15, v20 neg_lo:[1,1,0]
	v_dot4_i32_iu8 v55, v1, v12, v55 neg_lo:[1,1,0]
	v_dot4_i32_iu8 v56, v1, v13, v56 neg_lo:[1,1,0]
	v_dot4_i32_iu8 v57, v1, v14, v57 neg_lo:[1,1,0]
	v_dot4_i32_iu8 v21, v1, v15, v21 neg_lo:[1,1,0]
	v_dot4_i32_iu8 v58, v2, v12, v58 neg_lo:[1,1,0]
	v_dot4_i32_iu8 v59, v2, v13, v59 neg_lo:[1,1,0]
	v_dot4_i32_iu8 v60, v2, v14, v60 neg_lo:[1,1,0]
	v_dot4_i32_iu8 v22, v2, v15, v22 neg_lo:[1,1,0]
	v_dot4_i32_iu8 v61, v3, v12, v61 neg_lo:[1,1,0]
	v_dot4_i32_iu8 v62, v3, v13, v62 neg_lo:[1,1,0]
	;; [unrolled: 18-line block ×3, first 2 shown]
	v_dot4_i32_iu8 v30, v7, v10, v30 neg_lo:[1,1,0]
	v_dot4_i32_iu8 v31, v7, v11, v31 neg_lo:[1,1,0]
	;; [unrolled: 1-line block ×16, first 2 shown]
	ds_load_b128 v[8:11], v109 offset:29952
	v_dot4_i32_iu8 v26, v7, v14, v26 neg_lo:[1,1,0]
	v_dot4_i32_iu8 v27, v7, v15, v27 neg_lo:[1,1,0]
	ds_load_b128 v[4:7], v108 offset:13568
	s_wait_dscnt 0x2
	v_dot4_i32_iu8 v32, v0, v16, v32 neg_lo:[1,1,0]
	v_dot4_i32_iu8 v33, v0, v17, v33 neg_lo:[1,1,0]
	v_dot4_i32_iu8 v34, v0, v18, v34 neg_lo:[1,1,0]
	v_dot4_i32_iu8 v35, v0, v19, v35 neg_lo:[1,1,0]
	v_dot4_i32_iu8 v83, v1, v16, v83 neg_lo:[1,1,0]
	v_dot4_i32_iu8 v38, v1, v17, v38 neg_lo:[1,1,0]
	v_dot4_i32_iu8 v39, v1, v18, v39 neg_lo:[1,1,0]
	v_dot4_i32_iu8 v43, v1, v19, v43 neg_lo:[1,1,0]
	v_dot4_i32_iu8 v44, v2, v16, v44 neg_lo:[1,1,0]
	v_dot4_i32_iu8 v45, v2, v17, v45 neg_lo:[1,1,0]
	v_dot4_i32_iu8 v46, v2, v18, v46 neg_lo:[1,1,0]
	v_dot4_i32_iu8 v47, v2, v19, v47 neg_lo:[1,1,0]
	v_dot4_i32_iu8 v48, v3, v16, v48 neg_lo:[1,1,0]
	v_dot4_i32_iu8 v49, v3, v17, v49 neg_lo:[1,1,0]
	v_dot4_i32_iu8 v50, v3, v18, v50 neg_lo:[1,1,0]
	v_dot4_i32_iu8 v51, v3, v19, v51 neg_lo:[1,1,0]
	ds_load_b128 v[12:15], v109 offset:30208
	s_wait_dscnt 0x2
	v_dot4_i32_iu8 v52, v0, v8, v52 neg_lo:[1,1,0]
	v_dot4_i32_iu8 v53, v0, v9, v53 neg_lo:[1,1,0]
	v_dot4_i32_iu8 v54, v0, v10, v54 neg_lo:[1,1,0]
	v_dot4_i32_iu8 v20, v0, v11, v20 neg_lo:[1,1,0]
	v_dot4_i32_iu8 v55, v1, v8, v55 neg_lo:[1,1,0]
	v_dot4_i32_iu8 v56, v1, v9, v56 neg_lo:[1,1,0]
	v_dot4_i32_iu8 v57, v1, v10, v57 neg_lo:[1,1,0]
	v_dot4_i32_iu8 v21, v1, v11, v21 neg_lo:[1,1,0]
	v_dot4_i32_iu8 v58, v2, v8, v58 neg_lo:[1,1,0]
	v_dot4_i32_iu8 v59, v2, v9, v59 neg_lo:[1,1,0]
	v_dot4_i32_iu8 v60, v2, v10, v60 neg_lo:[1,1,0]
	v_dot4_i32_iu8 v22, v2, v11, v22 neg_lo:[1,1,0]
	v_dot4_i32_iu8 v61, v3, v8, v61 neg_lo:[1,1,0]
	v_dot4_i32_iu8 v62, v3, v9, v62 neg_lo:[1,1,0]
	;; [unrolled: 18-line block ×3, first 2 shown]
	v_dot4_i32_iu8 v30, v7, v18, v30 neg_lo:[1,1,0]
	v_dot4_i32_iu8 v31, v7, v19, v31 neg_lo:[1,1,0]
	;; [unrolled: 1-line block ×16, first 2 shown]
	ds_load_b128 v[16:19], v109 offset:30464
	v_dot4_i32_iu8 v26, v7, v10, v26 neg_lo:[1,1,0]
	v_dot4_i32_iu8 v27, v7, v11, v27 neg_lo:[1,1,0]
	ds_load_b128 v[4:7], v108 offset:14080
	ds_load_b128 v[8:11], v108 offset:14336
	s_wait_dscnt 0x3
	v_dot4_i32_iu8 v32, v0, v12, v32 neg_lo:[1,1,0]
	v_dot4_i32_iu8 v33, v0, v13, v33 neg_lo:[1,1,0]
	;; [unrolled: 1-line block ×16, first 2 shown]
	s_lshl_b32 s0, s53, 6
	s_lshl_b32 s2, s53, 7
	s_wait_dscnt 0x1
	v_dot4_i32_iu8 v64, v4, v12, v64 neg_lo:[1,1,0]
	v_dot4_i32_iu8 v65, v4, v13, v65 neg_lo:[1,1,0]
	;; [unrolled: 1-line block ×16, first 2 shown]
	ds_load_b128 v[12:15], v109 offset:30720
	v_dot4_i32_iu8 v52, v0, v16, v52 neg_lo:[1,1,0]
	v_dot4_i32_iu8 v53, v0, v17, v53 neg_lo:[1,1,0]
	;; [unrolled: 1-line block ×4, first 2 shown]
	v_or_b32_e32 v0, s31, v111
	v_dot4_i32_iu8 v58, v2, v16, v58 neg_lo:[1,1,0]
	v_dot4_i32_iu8 v59, v2, v17, v59 neg_lo:[1,1,0]
	;; [unrolled: 1-line block ×4, first 2 shown]
	v_mul_lo_u32 v2, v0, s52
	v_dot4_i32_iu8 v55, v1, v16, v55 neg_lo:[1,1,0]
	v_dot4_i32_iu8 v56, v1, v17, v56 neg_lo:[1,1,0]
	;; [unrolled: 1-line block ×4, first 2 shown]
	v_add_nc_u32_e32 v1, s47, v110
	s_mov_b32 s31, s27
	v_dot4_i32_iu8 v76, v4, v16, v76 neg_lo:[1,1,0]
	v_dot4_i32_iu8 v77, v4, v17, v77 neg_lo:[1,1,0]
	;; [unrolled: 1-line block ×3, first 2 shown]
	v_mad_co_u64_u32 v[20:21], null, v1, s53, v[2:3]
	v_dot4_i32_iu8 v79, v4, v19, v79 neg_lo:[1,1,0]
	v_dot4_i32_iu8 v61, v3, v16, v61 neg_lo:[1,1,0]
	;; [unrolled: 1-line block ×5, first 2 shown]
	s_wait_alu 0xfffe
	s_add_co_i32 s1, s0, s52
	s_wait_kmcnt 0x0
	buffer_load_b32 v2, v20, s[28:31], null offen
	v_add_nc_u32_e32 v4, s0, v20
	s_sub_co_i32 s1, s1, s2
	v_dot4_i32_iu8 v80, v5, v16, v80 neg_lo:[1,1,0]
	v_dot4_i32_iu8 v36, v5, v17, v36 neg_lo:[1,1,0]
	v_dot4_i32_iu8 v40, v5, v18, v40 neg_lo:[1,1,0]
	buffer_load_b32 v3, v4, s[28:31], null offen
	v_dot4_i32_iu8 v81, v5, v19, v81 neg_lo:[1,1,0]
	v_add_nc_u32_e32 v5, s1, v4
	v_dot4_i32_iu8 v37, v6, v16, v37 neg_lo:[1,1,0]
	v_dot4_i32_iu8 v41, v6, v17, v41 neg_lo:[1,1,0]
	v_dot4_i32_iu8 v42, v6, v18, v42 neg_lo:[1,1,0]
	v_dot4_i32_iu8 v82, v6, v19, v82 neg_lo:[1,1,0]
	v_dot4_i32_iu8 v24, v7, v16, v24 neg_lo:[1,1,0]
	v_dot4_i32_iu8 v25, v7, v17, v25 neg_lo:[1,1,0]
	v_dot4_i32_iu8 v26, v7, v18, v26 neg_lo:[1,1,0]
	v_dot4_i32_iu8 v7, v7, v19, v27 neg_lo:[1,1,0]
	ds_load_b128 v[16:19], v109 offset:30976
	ds_load_b128 v[20:23], v108 offset:14592
	buffer_load_b32 v4, v5, s[28:31], null offen
	v_add_nc_u32_e32 v6, s0, v5
	s_wait_dscnt 0x2
	v_dot4_i32_iu8 v27, v8, v12, v32 neg_lo:[1,1,0]
	v_dot4_i32_iu8 v32, v8, v13, v33 neg_lo:[1,1,0]
	;; [unrolled: 1-line block ×4, first 2 shown]
	buffer_load_b32 v5, v6, s[28:31], null offen
	v_dot4_i32_iu8 v35, v9, v12, v83 neg_lo:[1,1,0]
	s_mul_i32 s2, s52, 60
	v_dot4_i32_iu8 v38, v9, v13, v38 neg_lo:[1,1,0]
	v_dot4_i32_iu8 v39, v9, v14, v39 neg_lo:[1,1,0]
	v_dot4_i32_iu8 v43, v9, v15, v43 neg_lo:[1,1,0]
	v_dot4_i32_iu8 v44, v10, v12, v44 neg_lo:[1,1,0]
	v_dot4_i32_iu8 v45, v10, v13, v45 neg_lo:[1,1,0]
	v_dot4_i32_iu8 v46, v10, v14, v46 neg_lo:[1,1,0]
	v_dot4_i32_iu8 v47, v10, v15, v47 neg_lo:[1,1,0]
	v_dot4_i32_iu8 v48, v11, v12, v48 neg_lo:[1,1,0]
	v_dot4_i32_iu8 v49, v11, v13, v49 neg_lo:[1,1,0]
	s_wait_dscnt 0x1
	v_dot4_i32_iu8 v83, v8, v19, v84 neg_lo:[1,1,0]
	v_dot4_i32_iu8 v84, v9, v19, v85 neg_lo:[1,1,0]
	;; [unrolled: 1-line block ×4, first 2 shown]
	v_add_nc_u32_e32 v87, s1, v6
	s_wait_dscnt 0x0
	v_dot4_i32_iu8 v88, v23, v19, v7 neg_lo:[1,1,0]
	v_dot4_i32_iu8 v50, v11, v14, v50 neg_lo:[1,1,0]
	v_dot4_i32_iu8 v51, v11, v15, v51 neg_lo:[1,1,0]
	v_dot4_i32_iu8 v52, v8, v16, v52 neg_lo:[1,1,0]
	buffer_load_b32 v6, v87, s[28:31], null offen
	v_add_nc_u32_e32 v87, s0, v87
	v_dot4_i32_iu8 v53, v8, v17, v53 neg_lo:[1,1,0]
	v_dot4_i32_iu8 v54, v8, v18, v54 neg_lo:[1,1,0]
	v_dot4_i32_iu8 v55, v9, v16, v55 neg_lo:[1,1,0]
	v_dot4_i32_iu8 v56, v9, v17, v56 neg_lo:[1,1,0]
	buffer_load_b32 v7, v87, s[28:31], null offen
	v_add_nc_u32_e32 v87, s1, v87
	v_dot4_i32_iu8 v57, v9, v18, v57 neg_lo:[1,1,0]
	v_dot4_i32_iu8 v58, v10, v16, v58 neg_lo:[1,1,0]
	v_dot4_i32_iu8 v59, v10, v17, v59 neg_lo:[1,1,0]
	v_dot4_i32_iu8 v60, v10, v18, v60 neg_lo:[1,1,0]
	buffer_load_b32 v89, v87, s[28:31], null offen
	v_add_nc_u32_e32 v87, s0, v87
	v_dot4_i32_iu8 v61, v11, v16, v61 neg_lo:[1,1,0]
	v_dot4_i32_iu8 v62, v11, v17, v62 neg_lo:[1,1,0]
	;; [unrolled: 1-line block ×3, first 2 shown]
	ds_load_b128 v[8:11], v108 offset:14848
	buffer_load_b32 v90, v87, s[28:31], null offen
	v_add3_u32 v87, s1, s2, v87
	v_dot4_i32_iu8 v64, v20, v12, v64 neg_lo:[1,1,0]
	v_dot4_i32_iu8 v65, v20, v13, v65 neg_lo:[1,1,0]
	;; [unrolled: 1-line block ×16, first 2 shown]
	ds_load_b128 v[12:15], v109 offset:31232
	v_dot4_i32_iu8 v76, v20, v16, v76 neg_lo:[1,1,0]
	v_dot4_i32_iu8 v77, v20, v17, v77 neg_lo:[1,1,0]
	;; [unrolled: 1-line block ×15, first 2 shown]
	ds_load_b128 v[16:19], v109 offset:31488
	ds_load_b128 v[20:23], v108 offset:15104
	buffer_load_b32 v91, v87, s[28:31], null offen
	v_add_nc_u32_e32 v87, s0, v87
	s_wait_dscnt 0x2
	v_dot4_i32_iu8 v27, v8, v12, v27 neg_lo:[1,1,0]
	v_dot4_i32_iu8 v32, v8, v13, v32 neg_lo:[1,1,0]
	;; [unrolled: 1-line block ×16, first 2 shown]
	s_wait_dscnt 0x1
	v_dot4_i32_iu8 v52, v8, v16, v52 neg_lo:[1,1,0]
	v_dot4_i32_iu8 v53, v8, v17, v53 neg_lo:[1,1,0]
	;; [unrolled: 1-line block ×16, first 2 shown]
	ds_load_b128 v[8:11], v108 offset:15360
	s_wait_dscnt 0x1
	v_dot4_i32_iu8 v64, v20, v12, v64 neg_lo:[1,1,0]
	v_dot4_i32_iu8 v65, v20, v13, v65 neg_lo:[1,1,0]
	;; [unrolled: 1-line block ×16, first 2 shown]
	ds_load_b128 v[12:15], v109 offset:31744
	v_dot4_i32_iu8 v76, v20, v16, v76 neg_lo:[1,1,0]
	v_dot4_i32_iu8 v77, v20, v17, v77 neg_lo:[1,1,0]
	;; [unrolled: 1-line block ×16, first 2 shown]
	ds_load_b128 v[16:19], v109 offset:32000
	ds_load_b128 v[20:23], v108 offset:15616
	buffer_load_b32 v92, v87, s[28:31], null offen
	v_add_nc_u32_e32 v87, s1, v87
	s_wait_dscnt 0x2
	v_dot4_i32_iu8 v27, v8, v12, v27 neg_lo:[1,1,0]
	v_dot4_i32_iu8 v32, v8, v13, v32 neg_lo:[1,1,0]
	;; [unrolled: 1-line block ×4, first 2 shown]
	buffer_load_b32 v93, v87, s[28:31], null offen
	v_add_nc_u32_e32 v87, s0, v87
	v_dot4_i32_iu8 v35, v9, v12, v35 neg_lo:[1,1,0]
	v_dot4_i32_iu8 v38, v9, v13, v38 neg_lo:[1,1,0]
	;; [unrolled: 1-line block ×4, first 2 shown]
	buffer_load_b32 v94, v87, s[28:31], null offen
	v_add_nc_u32_e32 v87, s1, v87
	v_dot4_i32_iu8 v44, v10, v12, v44 neg_lo:[1,1,0]
	v_dot4_i32_iu8 v45, v10, v13, v45 neg_lo:[1,1,0]
	;; [unrolled: 1-line block ×4, first 2 shown]
	buffer_load_b32 v95, v87, s[28:31], null offen
	v_dot4_i32_iu8 v48, v11, v12, v48 neg_lo:[1,1,0]
	v_dot4_i32_iu8 v49, v11, v13, v49 neg_lo:[1,1,0]
	;; [unrolled: 1-line block ×4, first 2 shown]
	s_wait_dscnt 0x1
	v_dot4_i32_iu8 v52, v8, v16, v52 neg_lo:[1,1,0]
	v_dot4_i32_iu8 v53, v8, v17, v53 neg_lo:[1,1,0]
	;; [unrolled: 1-line block ×16, first 2 shown]
	ds_load_b128 v[8:11], v108 offset:15872
	s_wait_dscnt 0x1
	v_dot4_i32_iu8 v64, v20, v12, v64 neg_lo:[1,1,0]
	v_dot4_i32_iu8 v65, v20, v13, v65 neg_lo:[1,1,0]
	;; [unrolled: 1-line block ×16, first 2 shown]
	ds_load_b128 v[12:15], v109 offset:32256
	v_dot4_i32_iu8 v76, v20, v16, v76 neg_lo:[1,1,0]
	v_dot4_i32_iu8 v77, v20, v17, v77 neg_lo:[1,1,0]
	;; [unrolled: 1-line block ×16, first 2 shown]
	ds_load_b128 v[16:19], v109 offset:32512
	ds_load_b128 v[20:23], v108 offset:16128
	v_add_nc_u32_e32 v87, s0, v87
	v_cmp_gt_i32_e32 vcc_lo, s45, v1
	s_wait_dscnt 0x2
	v_dot4_i32_iu8 v27, v8, v12, v27 neg_lo:[1,1,0]
	v_dot4_i32_iu8 v32, v8, v13, v32 neg_lo:[1,1,0]
	v_dot4_i32_iu8 v33, v8, v14, v33 neg_lo:[1,1,0]
	buffer_load_b32 v96, v87, s[28:31], null offen
	v_dot4_i32_iu8 v34, v8, v15, v34 neg_lo:[1,1,0]
	v_dot4_i32_iu8 v35, v9, v12, v35 neg_lo:[1,1,0]
	;; [unrolled: 1-line block ×12, first 2 shown]
	s_wait_dscnt 0x1
	v_dot4_i32_iu8 v52, v8, v16, v52 neg_lo:[1,1,0]
	v_dot4_i32_iu8 v53, v8, v17, v53 neg_lo:[1,1,0]
	;; [unrolled: 1-line block ×4, first 2 shown]
	v_add_nc_u32_e32 v83, s1, v87
	v_dot4_i32_iu8 v55, v9, v16, v55 neg_lo:[1,1,0]
	v_dot4_i32_iu8 v56, v9, v17, v56 neg_lo:[1,1,0]
	;; [unrolled: 1-line block ×4, first 2 shown]
	buffer_load_b32 v84, v83, s[28:31], null offen
	v_add_nc_u32_e32 v83, s0, v83
	v_cmp_gt_i32_e64 s1, s36, v0
	s_wait_dscnt 0x0
	v_dot4_i32_iu8 v64, v20, v12, v64 neg_lo:[1,1,0]
	v_dot4_i32_iu8 v68, v21, v12, v68 neg_lo:[1,1,0]
	;; [unrolled: 1-line block ×3, first 2 shown]
	buffer_load_b32 v83, v83, s[28:31], null offen
	s_and_b32 s0, s1, vcc_lo
	v_dot4_i32_iu8 v12, v23, v12, v28 neg_lo:[1,1,0]
	v_dot4_i32_iu8 v28, v20, v16, v76 neg_lo:[1,1,0]
	;; [unrolled: 1-line block ×12, first 2 shown]
	v_add_nc_u32_e32 v26, 64, v1
	v_dot4_i32_iu8 v51, v11, v15, v51 neg_lo:[1,1,0]
	v_dot4_i32_iu8 v58, v10, v16, v58 neg_lo:[1,1,0]
	;; [unrolled: 1-line block ×26, first 2 shown]
	s_lshl_b32 s3, s35, 6
	s_wait_loadcnt 0xf
	s_wait_alu 0xfffe
	v_cndmask_b32_e64 v2, 0, v2, s0
	v_cmp_gt_i32_e64 s0, s45, v26
	s_delay_alu instid0(VALU_DEP_2)
	v_lshrrev_b32_e32 v76, 8, v2
	v_add_nc_u16 v24, v2, v27
	s_and_b32 s1, s1, s0
	s_wait_loadcnt 0xe
	s_wait_alu 0xfffe
	v_cndmask_b32_e64 v3, 0, v3, s1
	v_add_nc_u16 v25, v76, v32
	v_bfe_i32 v23, v24, 0, 8
	v_or_b32_e32 v32, 1, v0
	v_or_b32_e32 v76, 0x43, v0
	v_add_nc_u16 v27, v3, v52
	v_bfe_i32 v24, v25, 0, 8
	v_lshrrev_b32_e32 v25, 16, v2
	v_lshrrev_b32_e32 v2, 24, v2
	v_cmp_gt_i32_e64 s1, s36, v32
	v_max_i16 v23, v23, 0
	v_max_i16 v24, v24, 0
	v_add_nc_u16 v25, v25, v33
	v_add_nc_u16 v2, v2, v34
	v_lshrrev_b32_e32 v33, 8, v3
	s_and_b32 s2, s1, vcc_lo
	s_and_b32 s1, s1, s0
	s_wait_loadcnt 0xd
	s_wait_alu 0xfffe
	v_cndmask_b32_e64 v4, 0, v4, s2
	v_bfe_i32 v2, v2, 0, 8
	s_wait_loadcnt 0xc
	v_cndmask_b32_e64 v5, 0, v5, s1
	v_bfe_i32 v25, v25, 0, 8
	v_bfe_i32 v27, v27, 0, 8
	v_lshrrev_b32_e32 v52, 8, v4
	v_max_i16 v34, v2, 0
	v_add_nc_u16 v2, v33, v53
	v_lshrrev_b32_e32 v33, 16, v3
	v_lshrrev_b32_e32 v3, 24, v3
	v_and_b32_e32 v23, 0xffff, v23
	v_and_b32_e32 v24, 0xffff, v24
	v_bfe_i32 v2, v2, 0, 8
	v_add_nc_u16 v33, v33, v54
	v_add_nc_u16 v3, v3, v8
	v_max_i16 v25, v25, 0
	v_max_i16 v27, v27, 0
	;; [unrolled: 1-line block ×3, first 2 shown]
	v_bfe_i32 v8, v33, 0, 8
	v_add_nc_u16 v33, v4, v35
	v_add_nc_u16 v35, v52, v38
	v_and_b32_e32 v27, 0xffff, v27
	v_and_b32_e32 v38, 0xffff, v2
	v_bfe_i32 v2, v3, 0, 8
	v_max_i16 v3, v8, 0
	v_bfe_i32 v8, v33, 0, 8
	v_bfe_i32 v33, v35, 0, 8
	v_lshrrev_b32_e32 v35, 16, v4
	v_max_i16 v52, v2, 0
	v_lshrrev_b32_e32 v2, 24, v4
	v_max_i16 v4, v8, 0
	v_max_i16 v8, v33, 0
	v_add_nc_u16 v33, v35, v39
	v_or_b32_e32 v39, 2, v0
	v_add_nc_u16 v2, v2, v43
	v_lshrrev_b32_e32 v43, 8, v5
	v_add_nc_u16 v35, v5, v55
	v_bfe_i32 v33, v33, 0, 8
	v_cmp_gt_i32_e64 s1, s36, v39
	v_bfe_i32 v2, v2, 0, 8
	v_and_b32_e32 v4, 0xffff, v4
	v_bfe_i32 v35, v35, 0, 8
	v_and_b32_e32 v8, 0xffff, v8
	s_and_b32 s2, s1, vcc_lo
	v_max_i16 v53, v2, 0
	v_add_nc_u16 v2, v43, v56
	v_lshrrev_b32_e32 v43, 16, v5
	s_wait_loadcnt 0xb
	s_wait_alu 0xfffe
	v_cndmask_b32_e64 v6, 0, v6, s2
	v_lshrrev_b32_e32 v5, 24, v5
	s_and_b32 s1, s1, s0
	v_bfe_i32 v2, v2, 0, 8
	v_add_nc_u16 v43, v43, v57
	v_lshrrev_b32_e32 v54, 8, v6
	v_add_nc_u16 v5, v5, v9
	s_wait_loadcnt 0xa
	s_wait_alu 0xfffe
	v_cndmask_b32_e64 v7, 0, v7, s1
	v_max_i16 v2, v2, 0
	v_bfe_i32 v9, v43, 0, 8
	v_add_nc_u16 v43, v6, v44
	v_add_nc_u16 v44, v54, v45
	v_max_i16 v35, v35, 0
	v_and_b32_e32 v45, 0xffff, v2
	v_bfe_i32 v2, v5, 0, 8
	v_max_i16 v5, v9, 0
	v_bfe_i32 v9, v43, 0, 8
	v_bfe_i32 v43, v44, 0, 8
	v_lshrrev_b32_e32 v44, 16, v6
	v_max_i16 v54, v2, 0
	v_lshrrev_b32_e32 v2, 24, v6
	v_max_i16 v6, v9, 0
	v_max_i16 v9, v43, 0
	v_add_nc_u16 v43, v44, v46
	v_or_b32_e32 v46, 3, v0
	v_add_nc_u16 v2, v2, v47
	v_lshrrev_b32_e32 v47, 8, v7
	v_add_nc_u16 v44, v7, v58
	v_and_b32_e32 v35, 0xffff, v35
	v_cmp_gt_i32_e64 s1, s36, v46
	v_bfe_i32 v2, v2, 0, 8
	v_bfe_i32 v43, v43, 0, 8
	;; [unrolled: 1-line block ×3, first 2 shown]
	v_max_i16 v33, v33, 0
	s_and_b32 s2, s1, vcc_lo
	v_max_i16 v55, v2, 0
	v_add_nc_u16 v2, v47, v59
	v_lshrrev_b32_e32 v47, 16, v7
	s_wait_loadcnt 0x9
	s_wait_alu 0xfffe
	v_cndmask_b32_e64 v56, 0, v89, s2
	v_lshrrev_b32_e32 v7, 24, v7
	s_and_b32 s1, s1, s0
	v_bfe_i32 v2, v2, 0, 8
	v_add_nc_u16 v47, v47, v60
	v_lshrrev_b32_e32 v57, 8, v56
	v_add_nc_u16 v7, v7, v10
	v_and_b32_e32 v6, 0xffff, v6
	v_max_i16 v2, v2, 0
	v_bfe_i32 v10, v47, 0, 8
	v_add_nc_u16 v47, v56, v48
	v_add_nc_u16 v48, v57, v49
	v_and_b32_e32 v9, 0xffff, v9
	v_and_b32_e32 v49, 0xffff, v2
	v_bfe_i32 v2, v7, 0, 8
	v_max_i16 v7, v10, 0
	v_bfe_i32 v10, v47, 0, 8
	v_bfe_i32 v47, v48, 0, 8
	v_lshrrev_b32_e32 v48, 16, v56
	v_max_i16 v57, v2, 0
	v_lshrrev_b32_e32 v2, 24, v56
	v_or_b32_e32 v56, 64, v0
	v_max_i16 v43, v43, 0
	v_add_nc_u16 v48, v48, v50
	s_wait_loadcnt 0x8
	s_wait_alu 0xfffe
	v_cndmask_b32_e64 v50, 0, v90, s1
	v_add_nc_u16 v2, v2, v51
	v_cmp_gt_i32_e64 s1, s36, v56
	v_lshlrev_b32_e32 v5, 16, v5
	v_max_i16 v44, v44, 0
	v_lshrrev_b32_e32 v58, 8, v50
	v_bfe_i32 v2, v2, 0, 8
	s_and_b32 s2, s1, vcc_lo
	v_add_nc_u16 v51, v50, v61
	s_wait_loadcnt 0x7
	s_wait_alu 0xfffe
	v_cndmask_b32_e64 v60, 0, v91, s2
	s_and_b32 s1, s1, s0
	v_max_i16 v59, v2, 0
	v_add_nc_u16 v2, v58, v62
	v_lshrrev_b32_e32 v58, 16, v50
	v_lshrrev_b32_e32 v50, 24, v50
	;; [unrolled: 1-line block ×3, first 2 shown]
	v_bfe_i32 v51, v51, 0, 8
	v_bfe_i32 v2, v2, 0, 8
	v_add_nc_u16 v58, v58, v63
	v_add_nc_u16 v11, v50, v11
	;; [unrolled: 1-line block ×3, first 2 shown]
	v_lshl_or_b32 v4, v8, 8, v4
	v_max_i16 v2, v2, 0
	v_bfe_i32 v50, v58, 0, 8
	v_add_nc_u16 v58, v60, v64
	v_or_b32_e32 v64, 0x41, v0
	v_lshlrev_b32_e32 v8, 16, v33
	v_and_b32_e32 v62, 0xffff, v2
	v_bfe_i32 v2, v11, 0, 8
	v_max_i16 v11, v50, 0
	v_bfe_i32 v50, v58, 0, 8
	v_bfe_i32 v58, v61, 0, 8
	v_lshrrev_b32_e32 v61, 16, v60
	v_max_i16 v63, v2, 0
	v_lshrrev_b32_e32 v2, 24, v60
	v_lshl_or_b32 v6, v9, 8, v6
	v_lshlrev_b32_e32 v9, 16, v43
	v_add_nc_u16 v60, v61, v66
	s_wait_loadcnt 0x6
	s_wait_alu 0xfffe
	v_cndmask_b32_e64 v61, 0, v92, s1
	v_add_nc_u16 v2, v2, v67
	v_cmp_gt_i32_e64 s1, s36, v64
	v_and_b32_e32 v44, 0xffff, v44
	v_max_i16 v51, v51, 0
	v_lshrrev_b32_e32 v65, 8, v61
	v_bfe_i32 v2, v2, 0, 8
	v_add_nc_u16 v28, v61, v28
	s_and_b32 s2, s1, vcc_lo
	s_and_b32 s1, s1, s0
	v_max_i16 v10, v10, 0
	v_max_i16 v66, v2, 0
	v_add_nc_u16 v2, v65, v29
	v_lshrrev_b32_e32 v29, 16, v61
	v_lshrrev_b32_e32 v61, 24, v61
	s_wait_loadcnt 0x5
	s_wait_alu 0xfffe
	v_cndmask_b32_e64 v65, 0, v93, s2
	v_max_i16 v47, v47, 0
	v_bfe_i32 v2, v2, 0, 8
	v_add_nc_u16 v29, v29, v30
	v_add_nc_u16 v20, v61, v20
	v_lshrrev_b32_e32 v30, 8, v65
	v_add_nc_u16 v61, v65, v68
	v_max_i16 v2, v2, 0
	v_bfe_i32 v29, v29, 0, 8
	v_bfe_i32 v48, v48, 0, 8
	v_add_nc_u16 v30, v30, v69
	v_or_b32_e32 v69, 0x42, v0
	v_and_b32_e32 v67, 0xffff, v2
	v_bfe_i32 v2, v20, 0, 8
	v_max_i16 v20, v29, 0
	v_bfe_i32 v29, v61, 0, 8
	v_lshrrev_b32_e32 v61, 16, v65
	v_and_b32_e32 v51, 0xffff, v51
	v_max_i16 v68, v2, 0
	v_lshrrev_b32_e32 v2, 24, v65
	s_wait_loadcnt 0x4
	v_cndmask_b32_e64 v65, 0, v94, s1
	v_cmp_gt_i32_e64 s1, s36, v69
	v_add_nc_u16 v61, v61, v70
	v_lshlrev_b32_e32 v7, 16, v7
	v_add_nc_u16 v2, v2, v71
	v_lshrrev_b32_e32 v70, 8, v65
	s_and_b32 s2, s1, vcc_lo
	v_add_nc_u16 v31, v65, v31
	s_and_b32 s1, s1, s0
	v_bfe_i32 v2, v2, 0, 8
	v_and_b32_e32 v10, 0xffff, v10
	v_and_b32_e32 v47, 0xffff, v47
	v_max_i16 v48, v48, 0
	v_bfe_i32 v30, v30, 0, 8
	v_max_i16 v71, v2, 0
	v_add_nc_u16 v2, v70, v36
	v_lshrrev_b32_e32 v36, 16, v65
	s_wait_loadcnt 0x3
	s_wait_alu 0xfffe
	v_cndmask_b32_e64 v70, 0, v95, s2
	v_lshl_or_b32 v10, v47, 8, v10
	v_max_i16 v29, v29, 0
	v_bfe_i32 v2, v2, 0, 8
	v_add_nc_u16 v36, v36, v40
	v_lshrrev_b32_e32 v40, 24, v65
	v_lshrrev_b32_e32 v65, 8, v70
	v_max_i16 v30, v30, 0
	v_max_i16 v2, v2, 0
	v_bfe_i32 v61, v61, 0, 8
	v_add_nc_u16 v21, v40, v21
	v_add_nc_u16 v40, v70, v72
	;; [unrolled: 1-line block ×3, first 2 shown]
	v_and_b32_e32 v72, 0xffff, v2
	v_and_b32_e32 v29, 0xffff, v29
	v_bfe_i32 v2, v21, 0, 8
	v_bfe_i32 v21, v40, 0, 8
	;; [unrolled: 1-line block ×3, first 2 shown]
	v_lshrrev_b32_e32 v65, 16, v70
	v_lshrrev_b32_e32 v70, 24, v70
	v_max_i16 v73, v2, 0
	v_max_i16 v2, v21, 0
	;; [unrolled: 1-line block ×3, first 2 shown]
	v_add_nc_u16 v40, v65, v74
	v_add_nc_u16 v65, v70, v75
	s_wait_loadcnt 0x2
	v_cndmask_b32_e64 v70, 0, v96, s1
	v_and_b32_e32 v74, 0xffff, v2
	v_cmp_gt_i32_e64 s1, s36, v76
	v_bfe_i32 v2, v40, 0, 8
	v_bfe_i32 v40, v65, 0, 8
	v_add_nc_u16 v37, v70, v37
	v_lshrrev_b32_e32 v65, 8, v70
	s_and_b32 vcc_lo, s1, vcc_lo
	v_max_i16 v75, v2, 0
	v_and_b32_e32 v30, 0xffff, v30
	v_bfe_i32 v2, v37, 0, 8
	v_add_nc_u16 v37, v65, v41
	v_lshrrev_b32_e32 v41, 16, v70
	v_lshrrev_b32_e32 v65, 24, v70
	v_max_i16 v61, v61, 0
	v_max_i16 v2, v2, 0
	v_bfe_i32 v37, v37, 0, 8
	v_add_nc_u16 v41, v41, v42
	v_add_nc_u16 v22, v65, v22
	s_wait_loadcnt 0x1
	s_wait_alu 0xfffe
	v_dual_cndmask_b32 v42, 0, v84 :: v_dual_and_b32 v65, 0xffff, v2
	v_max_i16 v2, v37, 0
	v_bfe_i32 v37, v41, 0, 8
	s_and_b32 vcc_lo, s1, s0
	s_delay_alu instid0(VALU_DEP_3)
	v_lshrrev_b32_e32 v41, 8, v42
	v_add_nc_u16 v12, v42, v12
	v_and_b32_e32 v70, 0xffff, v2
	v_cmp_gt_i32_e64 s0, s33, v0
	v_bfe_i32 v22, v22, 0, 8
	v_add_nc_u16 v2, v41, v13
	v_lshrrev_b32_e32 v13, 16, v42
	s_wait_loadcnt 0x0
	s_wait_alu 0xfffe
	v_cndmask_b32_e32 v41, 0, v83, vcc_lo
	v_cmp_gt_i32_e32 vcc_lo, s19, v1
	v_bfe_i32 v12, v12, 0, 8
	v_bfe_i32 v2, v2, 0, 8
	v_add_nc_u16 v13, v13, v14
	v_lshrrev_b32_e32 v14, 24, v42
	v_lshrrev_b32_e32 v42, 8, v41
	v_add_nc_u16 v16, v41, v16
	v_max_i16 v2, v2, 0
	s_and_b32 s1, s0, vcc_lo
	v_max_i16 v12, v12, 0
	v_add_nc_u16 v17, v42, v17
	v_bfe_i32 v13, v13, 0, 8
	v_and_b32_e32 v42, 0xffff, v2
	v_add_nc_u16 v2, v14, v15
	v_bfe_i32 v14, v16, 0, 8
	v_bfe_i32 v15, v17, 0, 8
	v_lshrrev_b32_e32 v17, 24, v41
	v_lshrrev_b32_e32 v16, 16, v41
	v_bfe_i32 v2, v2, 0, 8
	v_and_b32_e32 v12, 0xffff, v12
	v_max_i16 v13, v13, 0
	v_add_nc_u16 v17, v17, v19
	v_add_nc_u16 v16, v16, v18
	v_max_i16 v18, v2, 0
	v_mul_lo_u32 v2, v0, s34
	v_lshl_or_b32 v19, v24, 8, v23
	v_bfe_i32 v17, v17, 0, 8
	v_bfe_i32 v16, v16, 0, 8
	v_lshlrev_b32_e32 v23, 16, v25
	v_lshlrev_b32_e32 v24, 24, v34
	v_max_i16 v14, v14, 0
	v_max_i16 v15, v15, 0
	v_mad_co_u64_u32 v[0:1], null, v1, s35, v[2:3]
	v_max_i16 v2, v17, 0
	s_wait_alu 0xfffe
	v_cndmask_b32_e64 v17, 0x80000000, 0, s1
	v_cmp_gt_i32_e64 s1, s19, v26
	v_max_i16 v1, v16, 0
	v_or3_b32 v16, v19, v23, v24
	v_lshl_or_b32 v23, v38, 8, v27
	v_add_nc_u32_e32 v19, s3, v0
	s_and_b32 s0, s0, s1
	v_lshlrev_b32_e32 v3, 16, v3
	v_lshlrev_b32_e32 v24, 24, v52
	s_wait_alu 0xfffe
	v_cndmask_b32_e64 v25, 0x80000000, 0, s0
	v_cmp_gt_i32_e64 s0, s33, v32
	v_add_nc_u32_e32 v17, v17, v0
	s_mov_b32 s19, s27
	v_or3_b32 v3, v23, v3, v24
	v_add_nc_u32_e32 v23, v25, v19
	s_and_b32 s2, s0, s1
	s_clause 0x1
	buffer_store_b32 v16, v17, s[16:19], null offen
	buffer_store_b32 v3, v23, s[16:19], null offen
	v_cndmask_b32_e64 v16, 0x80000000, 0, s2
	v_cmp_gt_i32_e64 s2, s33, v39
	v_lshl_or_b32 v24, v45, 8, v35
	v_lshlrev_b32_e32 v25, 24, v54
	s_and_b32 s0, s0, vcc_lo
	v_add_nc_u32_e32 v3, s34, v19
	s_wait_alu 0xfffe
	v_cndmask_b32_e64 v19, 0x80000000, 0, s0
	s_and_b32 s0, s2, vcc_lo
	v_add_nc_u32_e32 v0, s34, v0
	v_lshlrev_b32_e32 v17, 24, v53
	v_or3_b32 v5, v24, v5, v25
	v_lshlrev_b32_e32 v23, 24, v55
	s_wait_alu 0xfffe
	v_cndmask_b32_e64 v24, 0x80000000, 0, s0
	v_add_nc_u32_e32 v16, v16, v3
	v_add_nc_u32_e32 v3, s34, v3
	s_and_b32 s0, s2, s1
	v_or3_b32 v4, v4, v8, v17
	v_add_nc_u32_e32 v8, v0, v19
	v_or3_b32 v6, v6, v9, v23
	v_add3_u32 v0, v24, s34, v0
	s_wait_alu 0xfffe
	v_cndmask_b32_e64 v19, 0x80000000, 0, s0
	v_cmp_gt_i32_e64 s0, s33, v46
	v_lshl_or_b32 v9, v49, 8, v44
	v_lshlrev_b32_e32 v17, 24, v57
	s_clause 0x2
	buffer_store_b32 v5, v16, s[16:19], null offen
	buffer_store_b32 v4, v8, s[16:19], null offen
	;; [unrolled: 1-line block ×3, first 2 shown]
	v_add_nc_u32_e32 v5, s34, v3
	s_and_b32 s2, s0, s1
	s_and_b32 s0, s0, vcc_lo
	v_or3_b32 v0, v9, v7, v17
	v_add_nc_u32_e32 v4, v3, v19
	v_lshl_or_b32 v6, v62, 8, v51
	v_lshlrev_b32_e32 v7, 16, v11
	v_lshlrev_b32_e32 v8, 24, v63
	s_wait_alu 0xfffe
	v_cndmask_b32_e64 v9, 0x80000000, 0, s2
	v_subrev_nc_u32_e32 v11, s3, v5
	v_lshlrev_b32_e32 v16, 16, v48
	v_lshlrev_b32_e32 v17, 24, v59
	v_cndmask_b32_e64 v19, 0x80000000, 0, s0
	v_cmp_gt_i32_e64 s0, s33, v76
	buffer_store_b32 v0, v4, s[16:19], null offen
	v_or3_b32 v0, v6, v7, v8
	v_add_nc_u32_e32 v4, v5, v9
	v_or3_b32 v6, v10, v16, v17
	v_add_nc_u32_e32 v7, v11, v19
	s_and_b32 s4, s0, vcc_lo
	s_and_b32 s0, s0, s1
	s_clause 0x1
	buffer_store_b32 v0, v4, s[16:19], null offen
	buffer_store_b32 v6, v7, s[16:19], null offen
	v_cndmask_b32_e64 v7, 0x80000000, 0, s0
	v_cmp_ge_i32_e64 s0, s33, v76
	v_max_i16 v37, v37, 0
	v_max_i16 v22, v22, 0
	v_and_b32_e32 v14, 0xffff, v14
	v_and_b32_e32 v15, 0xffff, v15
	v_lshl_or_b32 v8, v42, 8, v12
	v_lshlrev_b32_e32 v9, 16, v13
	v_lshlrev_b32_e32 v10, 24, v18
	s_and_b32 s0, s0, s1
	v_lshl_or_b32 v6, v15, 8, v14
	s_wait_alu 0xfffe
	v_cndmask_b32_e64 v12, 0x80000000, 0, s0
	v_cmp_gt_i32_e64 s0, s33, v69
	v_or3_b32 v0, v8, v9, v10
	v_lshlrev_b32_e32 v1, 16, v1
	v_lshlrev_b32_e32 v2, 24, v2
	v_lshl_or_b32 v8, v70, 8, v65
	v_lshlrev_b32_e32 v9, 16, v37
	v_lshlrev_b32_e32 v10, 24, v22
	s_lshl_b32 s2, s34, 6
	v_cndmask_b32_e64 v4, 0x80000000, 0, s4
	s_and_b32 s0, s0, vcc_lo
	s_wait_alu 0xfffe
	v_add_nc_u32_e32 v3, s2, v3
	v_or3_b32 v1, v6, v1, v2
	v_add3_u32 v2, v5, s2, v7
	v_or3_b32 v5, v8, v9, v10
	v_cndmask_b32_e64 v10, 0x80000000, 0, s0
	v_cmp_ge_i32_e64 s0, s33, v69
	v_add3_u32 v4, v4, s2, v11
	v_add_nc_u32_e32 v6, v3, v12
	v_subrev_nc_u32_e32 v3, s3, v3
	v_bfe_i32 v31, v31, 0, 8
	s_and_b32 s0, s0, vcc_lo
	s_clause 0x2
	buffer_store_b32 v0, v4, s[16:19], null offen
	buffer_store_b32 v1, v2, s[16:19], null offen
	;; [unrolled: 1-line block ×3, first 2 shown]
	v_cndmask_b32_e64 v6, 0x80000000, 0, s0
	v_cmp_gt_i32_e64 s0, s33, v64
	v_add_nc_u32_e32 v1, v3, v10
	v_subrev_nc_u32_e32 v2, s34, v3
	v_lshl_or_b32 v3, v30, 8, v29
	v_lshlrev_b32_e32 v4, 16, v61
	v_lshlrev_b32_e32 v5, 24, v71
	v_bfe_i32 v28, v28, 0, 8
	v_max_i16 v31, v31, 0
	v_bfe_i32 v36, v36, 0, 8
	v_and_b32_e32 v21, 0xffff, v21
	v_max_i16 v40, v40, 0
	s_and_b32 s0, s0, s1
	v_or3_b32 v3, v3, v4, v5
	v_add_nc_u32_e32 v4, s3, v2
	v_add_nc_u32_e32 v2, v2, v6
	s_wait_alu 0xfffe
	v_cndmask_b32_e64 v6, 0x80000000, 0, s0
	v_cmp_gt_i32_e64 s0, s33, v56
	v_max_i16 v28, v28, 0
	v_and_b32_e32 v31, 0xffff, v31
	v_max_i16 v36, v36, 0
	v_lshl_or_b32 v7, v21, 8, v74
	v_lshlrev_b32_e32 v8, 16, v75
	v_lshlrev_b32_e32 v9, 24, v40
	v_max_i16 v50, v50, 0
	v_max_i16 v58, v58, 0
	v_bfe_i32 v60, v60, 0, 8
	v_cmp_ge_i32_e64 s2, s33, v64
	s_and_b32 s0, s0, vcc_lo
	v_and_b32_e32 v28, 0xffff, v28
	v_or3_b32 v0, v7, v8, v9
	v_lshl_or_b32 v7, v72, 8, v31
	v_lshlrev_b32_e32 v8, 16, v36
	v_lshlrev_b32_e32 v9, 24, v73
	v_and_b32_e32 v50, 0xffff, v50
	v_and_b32_e32 v58, 0xffff, v58
	v_max_i16 v60, v60, 0
	s_wait_alu 0xfffe
	v_cndmask_b32_e64 v11, 0x80000000, 0, s0
	s_and_b32 s0, s2, s1
	v_or3_b32 v5, v7, v8, v9
	v_subrev_nc_u32_e32 v7, s34, v4
	v_lshl_or_b32 v8, v67, 8, v28
	v_lshlrev_b32_e32 v9, 16, v20
	v_lshlrev_b32_e32 v10, 24, v68
	s_wait_alu 0xfffe
	v_cndmask_b32_e64 v12, 0x80000000, 0, s0
	v_lshl_or_b32 v13, v58, 8, v50
	v_lshlrev_b32_e32 v14, 16, v60
	v_lshlrev_b32_e32 v15, 24, v66
	v_subrev_nc_u32_e32 v11, s3, v11
	v_add_nc_u32_e32 v4, v4, v6
	v_or3_b32 v6, v8, v9, v10
	v_add_nc_u32_e32 v8, v7, v12
	v_or3_b32 v9, v13, v14, v15
	v_add_nc_u32_e32 v7, v11, v7
	s_clause 0x4
	buffer_store_b32 v0, v1, s[16:19], null offen
	buffer_store_b32 v3, v2, s[16:19], null offen
	buffer_store_b32 v5, v4, s[16:19], null offen
	buffer_store_b32 v6, v8, s[16:19], null offen
	buffer_store_b32 v9, v7, s[16:19], null offen
	s_nop 0
	s_sendmsg sendmsg(MSG_DEALLOC_VGPRS)
	s_endpgm
	.section	.rodata,"a",@progbits
	.p2align	6, 0x0
	.amdhsa_kernel _ZN2ck16tensor_operation6device12_GLOBAL__N_137kernel_grouped_conv_fwd_dl_multiple_dINS_32GridwiseGemmDlMultipleD_km_kn_mnILi256EaiNS_5TupleIJaEEEaNS0_12element_wise11PassThroughES8_NS7_7AddReluELNS_25InMemoryDataOperationEnumE0ENS_16TensorDescriptorINS5_IJNS_5EmbedINS5_IJiiiiEEESD_Lb0EEENS_11PassThroughIiEENS_3PadIiiiLb0EEESI_SG_SG_NSC_INS5_IJiiEEESJ_Lb0EEESK_SG_NS_23Merge_v2_magic_divisionINS5_IJiiiEEEEESN_NS_8RightPadIiiLb0EEESP_NS_7UnMergeISJ_Lb0EEESG_EEENS5_IJNS_8SequenceIJLi0EEEENST_IJLi1EEEENST_IJLi2EEEENST_IJLi3EEEENST_IJLi4EEEENST_IJLi5EEEENST_IJLi6EEEENST_IJLi7EEEENST_IJLi8EEEENST_IJLi9ELi11ELi13EEEENST_IJLi10ELi12ELi14EEEENST_IJLi15EEEENST_IJLi16EEEENST_IJLi18EEEENST_IJLi17EEEEEEENS5_IJNST_IJLi1ELi2ELi3ELi4EEEESZ_S10_S11_S12_NST_IJLi9EEEENST_IJLi10ELi11EEEENST_IJLi12ELi13EEEENST_IJLi14EEEES15_S16_S18_S17_NST_IJLi19ELi20EEEENST_IJLi21EEEEEEENST_IJLi19ELi21ELi20EEEElEENSB_INS5_IJSR_SP_SP_SR_SG_EEENS5_IJSU_SV_SW_SY_SX_EEENS5_IJNST_IJLi1ELi2EEEESX_SY_NST_IJLi5ELi6EEEES11_EEENST_IJLi5ELi7ELi6EEEElEENSB_INS5_IJSK_SP_SP_EEENS5_IJSU_SV_SW_EEENS5_IJS1M_SX_SY_EEENST_IJLi3ELi4EEEElEELi128ELi128ELi16ELi4ELi4ELi4ELi1ENST_IJLi8ELi2EEEES1W_NST_IJLi8ELi1ELi1ELi4EEEENST_IJLi2ELi1ELi128ELi1EEEENST_IJLi1ELi2ELi0ELi3EEEES1Z_NST_IJLi4ELi1ELi1ELi4EEEES1Z_NST_IJLi1ELi1ELi1ELi4EEEES1X_S1Y_S1Z_S1Z_S20_S1Z_S21_NST_IJLi0ELi1ELi2ELi3ELi4ELi5EEEELi5ELi4EEEaNS5_IJPKaEEEaS8_S8_S9_NSB_INS5_IJSE_SG_SI_SI_SG_SG_SK_SK_SG_SN_SN_SP_SP_SR_SG_SG_NSQ_INS5_IJiNS_17integral_constantIiLi128EEEEEELb0EEENSF_INS27_IiLi4EEEEEEEENS5_IJSU_SV_SW_SX_SY_SZ_S10_S11_S12_S13_S14_S15_S16_S17_S18_NST_IJLi19EEEES1G_NST_IJLi20EEEEEEENS5_IJS1A_SZ_S10_S11_S12_S1B_S1C_S1D_S1E_S15_S16_S18_S17_S1F_S1G_NST_IJLi22EEEENST_IJLi23ELi24EEEENST_IJLi25EEEEEEENST_IJLi22ELi23ELi24ELi25EEEElEENSB_INS5_IJSR_SP_SP_SR_SG_SG_S2A_S2C_EEENS5_IJSU_SV_SW_SY_SX_SZ_S11_S10_EEENS5_IJS1M_SX_SY_S1N_S11_S12_NST_IJLi9ELi10EEEENST_IJLi11EEEEEEENST_IJLi8ELi9ELi10ELi11EEEElEENS5_IJNSB_INS5_IJSK_SP_SP_NSQ_INS5_IJiNS27_IiLi2EEENS27_IiLi64EEEEEELb0EEES2X_EEENS5_IJSU_SV_SW_SX_SY_EEENS5_IJS1M_SX_SY_NST_IJLi5ELi6ELi7EEEENST_IJLi8ELi9ELi10EEEEEEENST_IJLi5ELi6ELi7ELi8ELi9ELi10EEEElEEEEES34_NS_31BlockToCTileMap_M00_N00_M01_N01ILi128ELi128ES1V_Lb0EEENS1_30ComputePtrOffsetOfStridedBatchILi1ELi1ELi1EvEELb0ELb1EEEvPKT0_S3C_T1_PT2_T3_T4_T5_iT6_T7_T8_T9_T10_T11_
		.amdhsa_group_segment_fixed_size 32768
		.amdhsa_private_segment_fixed_size 0
		.amdhsa_kernarg_size 968
		.amdhsa_user_sgpr_count 2
		.amdhsa_user_sgpr_dispatch_ptr 0
		.amdhsa_user_sgpr_queue_ptr 0
		.amdhsa_user_sgpr_kernarg_segment_ptr 1
		.amdhsa_user_sgpr_dispatch_id 0
		.amdhsa_user_sgpr_private_segment_size 0
		.amdhsa_wavefront_size32 1
		.amdhsa_uses_dynamic_stack 0
		.amdhsa_enable_private_segment 0
		.amdhsa_system_sgpr_workgroup_id_x 1
		.amdhsa_system_sgpr_workgroup_id_y 0
		.amdhsa_system_sgpr_workgroup_id_z 0
		.amdhsa_system_sgpr_workgroup_info 0
		.amdhsa_system_vgpr_workitem_id 0
		.amdhsa_next_free_vgpr 189
		.amdhsa_next_free_sgpr 71
		.amdhsa_reserve_vcc 1
		.amdhsa_float_round_mode_32 0
		.amdhsa_float_round_mode_16_64 0
		.amdhsa_float_denorm_mode_32 3
		.amdhsa_float_denorm_mode_16_64 3
		.amdhsa_fp16_overflow 0
		.amdhsa_workgroup_processor_mode 1
		.amdhsa_memory_ordered 1
		.amdhsa_forward_progress 1
		.amdhsa_inst_pref_size 189
		.amdhsa_round_robin_scheduling 0
		.amdhsa_exception_fp_ieee_invalid_op 0
		.amdhsa_exception_fp_denorm_src 0
		.amdhsa_exception_fp_ieee_div_zero 0
		.amdhsa_exception_fp_ieee_overflow 0
		.amdhsa_exception_fp_ieee_underflow 0
		.amdhsa_exception_fp_ieee_inexact 0
		.amdhsa_exception_int_div_zero 0
	.end_amdhsa_kernel
	.section	.text._ZN2ck16tensor_operation6device12_GLOBAL__N_137kernel_grouped_conv_fwd_dl_multiple_dINS_32GridwiseGemmDlMultipleD_km_kn_mnILi256EaiNS_5TupleIJaEEEaNS0_12element_wise11PassThroughES8_NS7_7AddReluELNS_25InMemoryDataOperationEnumE0ENS_16TensorDescriptorINS5_IJNS_5EmbedINS5_IJiiiiEEESD_Lb0EEENS_11PassThroughIiEENS_3PadIiiiLb0EEESI_SG_SG_NSC_INS5_IJiiEEESJ_Lb0EEESK_SG_NS_23Merge_v2_magic_divisionINS5_IJiiiEEEEESN_NS_8RightPadIiiLb0EEESP_NS_7UnMergeISJ_Lb0EEESG_EEENS5_IJNS_8SequenceIJLi0EEEENST_IJLi1EEEENST_IJLi2EEEENST_IJLi3EEEENST_IJLi4EEEENST_IJLi5EEEENST_IJLi6EEEENST_IJLi7EEEENST_IJLi8EEEENST_IJLi9ELi11ELi13EEEENST_IJLi10ELi12ELi14EEEENST_IJLi15EEEENST_IJLi16EEEENST_IJLi18EEEENST_IJLi17EEEEEEENS5_IJNST_IJLi1ELi2ELi3ELi4EEEESZ_S10_S11_S12_NST_IJLi9EEEENST_IJLi10ELi11EEEENST_IJLi12ELi13EEEENST_IJLi14EEEES15_S16_S18_S17_NST_IJLi19ELi20EEEENST_IJLi21EEEEEEENST_IJLi19ELi21ELi20EEEElEENSB_INS5_IJSR_SP_SP_SR_SG_EEENS5_IJSU_SV_SW_SY_SX_EEENS5_IJNST_IJLi1ELi2EEEESX_SY_NST_IJLi5ELi6EEEES11_EEENST_IJLi5ELi7ELi6EEEElEENSB_INS5_IJSK_SP_SP_EEENS5_IJSU_SV_SW_EEENS5_IJS1M_SX_SY_EEENST_IJLi3ELi4EEEElEELi128ELi128ELi16ELi4ELi4ELi4ELi1ENST_IJLi8ELi2EEEES1W_NST_IJLi8ELi1ELi1ELi4EEEENST_IJLi2ELi1ELi128ELi1EEEENST_IJLi1ELi2ELi0ELi3EEEES1Z_NST_IJLi4ELi1ELi1ELi4EEEES1Z_NST_IJLi1ELi1ELi1ELi4EEEES1X_S1Y_S1Z_S1Z_S20_S1Z_S21_NST_IJLi0ELi1ELi2ELi3ELi4ELi5EEEELi5ELi4EEEaNS5_IJPKaEEEaS8_S8_S9_NSB_INS5_IJSE_SG_SI_SI_SG_SG_SK_SK_SG_SN_SN_SP_SP_SR_SG_SG_NSQ_INS5_IJiNS_17integral_constantIiLi128EEEEEELb0EEENSF_INS27_IiLi4EEEEEEEENS5_IJSU_SV_SW_SX_SY_SZ_S10_S11_S12_S13_S14_S15_S16_S17_S18_NST_IJLi19EEEES1G_NST_IJLi20EEEEEEENS5_IJS1A_SZ_S10_S11_S12_S1B_S1C_S1D_S1E_S15_S16_S18_S17_S1F_S1G_NST_IJLi22EEEENST_IJLi23ELi24EEEENST_IJLi25EEEEEEENST_IJLi22ELi23ELi24ELi25EEEElEENSB_INS5_IJSR_SP_SP_SR_SG_SG_S2A_S2C_EEENS5_IJSU_SV_SW_SY_SX_SZ_S11_S10_EEENS5_IJS1M_SX_SY_S1N_S11_S12_NST_IJLi9ELi10EEEENST_IJLi11EEEEEEENST_IJLi8ELi9ELi10ELi11EEEElEENS5_IJNSB_INS5_IJSK_SP_SP_NSQ_INS5_IJiNS27_IiLi2EEENS27_IiLi64EEEEEELb0EEES2X_EEENS5_IJSU_SV_SW_SX_SY_EEENS5_IJS1M_SX_SY_NST_IJLi5ELi6ELi7EEEENST_IJLi8ELi9ELi10EEEEEEENST_IJLi5ELi6ELi7ELi8ELi9ELi10EEEElEEEEES34_NS_31BlockToCTileMap_M00_N00_M01_N01ILi128ELi128ES1V_Lb0EEENS1_30ComputePtrOffsetOfStridedBatchILi1ELi1ELi1EvEELb0ELb1EEEvPKT0_S3C_T1_PT2_T3_T4_T5_iT6_T7_T8_T9_T10_T11_,"axG",@progbits,_ZN2ck16tensor_operation6device12_GLOBAL__N_137kernel_grouped_conv_fwd_dl_multiple_dINS_32GridwiseGemmDlMultipleD_km_kn_mnILi256EaiNS_5TupleIJaEEEaNS0_12element_wise11PassThroughES8_NS7_7AddReluELNS_25InMemoryDataOperationEnumE0ENS_16TensorDescriptorINS5_IJNS_5EmbedINS5_IJiiiiEEESD_Lb0EEENS_11PassThroughIiEENS_3PadIiiiLb0EEESI_SG_SG_NSC_INS5_IJiiEEESJ_Lb0EEESK_SG_NS_23Merge_v2_magic_divisionINS5_IJiiiEEEEESN_NS_8RightPadIiiLb0EEESP_NS_7UnMergeISJ_Lb0EEESG_EEENS5_IJNS_8SequenceIJLi0EEEENST_IJLi1EEEENST_IJLi2EEEENST_IJLi3EEEENST_IJLi4EEEENST_IJLi5EEEENST_IJLi6EEEENST_IJLi7EEEENST_IJLi8EEEENST_IJLi9ELi11ELi13EEEENST_IJLi10ELi12ELi14EEEENST_IJLi15EEEENST_IJLi16EEEENST_IJLi18EEEENST_IJLi17EEEEEEENS5_IJNST_IJLi1ELi2ELi3ELi4EEEESZ_S10_S11_S12_NST_IJLi9EEEENST_IJLi10ELi11EEEENST_IJLi12ELi13EEEENST_IJLi14EEEES15_S16_S18_S17_NST_IJLi19ELi20EEEENST_IJLi21EEEEEEENST_IJLi19ELi21ELi20EEEElEENSB_INS5_IJSR_SP_SP_SR_SG_EEENS5_IJSU_SV_SW_SY_SX_EEENS5_IJNST_IJLi1ELi2EEEESX_SY_NST_IJLi5ELi6EEEES11_EEENST_IJLi5ELi7ELi6EEEElEENSB_INS5_IJSK_SP_SP_EEENS5_IJSU_SV_SW_EEENS5_IJS1M_SX_SY_EEENST_IJLi3ELi4EEEElEELi128ELi128ELi16ELi4ELi4ELi4ELi1ENST_IJLi8ELi2EEEES1W_NST_IJLi8ELi1ELi1ELi4EEEENST_IJLi2ELi1ELi128ELi1EEEENST_IJLi1ELi2ELi0ELi3EEEES1Z_NST_IJLi4ELi1ELi1ELi4EEEES1Z_NST_IJLi1ELi1ELi1ELi4EEEES1X_S1Y_S1Z_S1Z_S20_S1Z_S21_NST_IJLi0ELi1ELi2ELi3ELi4ELi5EEEELi5ELi4EEEaNS5_IJPKaEEEaS8_S8_S9_NSB_INS5_IJSE_SG_SI_SI_SG_SG_SK_SK_SG_SN_SN_SP_SP_SR_SG_SG_NSQ_INS5_IJiNS_17integral_constantIiLi128EEEEEELb0EEENSF_INS27_IiLi4EEEEEEEENS5_IJSU_SV_SW_SX_SY_SZ_S10_S11_S12_S13_S14_S15_S16_S17_S18_NST_IJLi19EEEES1G_NST_IJLi20EEEEEEENS5_IJS1A_SZ_S10_S11_S12_S1B_S1C_S1D_S1E_S15_S16_S18_S17_S1F_S1G_NST_IJLi22EEEENST_IJLi23ELi24EEEENST_IJLi25EEEEEEENST_IJLi22ELi23ELi24ELi25EEEElEENSB_INS5_IJSR_SP_SP_SR_SG_SG_S2A_S2C_EEENS5_IJSU_SV_SW_SY_SX_SZ_S11_S10_EEENS5_IJS1M_SX_SY_S1N_S11_S12_NST_IJLi9ELi10EEEENST_IJLi11EEEEEEENST_IJLi8ELi9ELi10ELi11EEEElEENS5_IJNSB_INS5_IJSK_SP_SP_NSQ_INS5_IJiNS27_IiLi2EEENS27_IiLi64EEEEEELb0EEES2X_EEENS5_IJSU_SV_SW_SX_SY_EEENS5_IJS1M_SX_SY_NST_IJLi5ELi6ELi7EEEENST_IJLi8ELi9ELi10EEEEEEENST_IJLi5ELi6ELi7ELi8ELi9ELi10EEEElEEEEES34_NS_31BlockToCTileMap_M00_N00_M01_N01ILi128ELi128ES1V_Lb0EEENS1_30ComputePtrOffsetOfStridedBatchILi1ELi1ELi1EvEELb0ELb1EEEvPKT0_S3C_T1_PT2_T3_T4_T5_iT6_T7_T8_T9_T10_T11_,comdat
.Lfunc_end7:
	.size	_ZN2ck16tensor_operation6device12_GLOBAL__N_137kernel_grouped_conv_fwd_dl_multiple_dINS_32GridwiseGemmDlMultipleD_km_kn_mnILi256EaiNS_5TupleIJaEEEaNS0_12element_wise11PassThroughES8_NS7_7AddReluELNS_25InMemoryDataOperationEnumE0ENS_16TensorDescriptorINS5_IJNS_5EmbedINS5_IJiiiiEEESD_Lb0EEENS_11PassThroughIiEENS_3PadIiiiLb0EEESI_SG_SG_NSC_INS5_IJiiEEESJ_Lb0EEESK_SG_NS_23Merge_v2_magic_divisionINS5_IJiiiEEEEESN_NS_8RightPadIiiLb0EEESP_NS_7UnMergeISJ_Lb0EEESG_EEENS5_IJNS_8SequenceIJLi0EEEENST_IJLi1EEEENST_IJLi2EEEENST_IJLi3EEEENST_IJLi4EEEENST_IJLi5EEEENST_IJLi6EEEENST_IJLi7EEEENST_IJLi8EEEENST_IJLi9ELi11ELi13EEEENST_IJLi10ELi12ELi14EEEENST_IJLi15EEEENST_IJLi16EEEENST_IJLi18EEEENST_IJLi17EEEEEEENS5_IJNST_IJLi1ELi2ELi3ELi4EEEESZ_S10_S11_S12_NST_IJLi9EEEENST_IJLi10ELi11EEEENST_IJLi12ELi13EEEENST_IJLi14EEEES15_S16_S18_S17_NST_IJLi19ELi20EEEENST_IJLi21EEEEEEENST_IJLi19ELi21ELi20EEEElEENSB_INS5_IJSR_SP_SP_SR_SG_EEENS5_IJSU_SV_SW_SY_SX_EEENS5_IJNST_IJLi1ELi2EEEESX_SY_NST_IJLi5ELi6EEEES11_EEENST_IJLi5ELi7ELi6EEEElEENSB_INS5_IJSK_SP_SP_EEENS5_IJSU_SV_SW_EEENS5_IJS1M_SX_SY_EEENST_IJLi3ELi4EEEElEELi128ELi128ELi16ELi4ELi4ELi4ELi1ENST_IJLi8ELi2EEEES1W_NST_IJLi8ELi1ELi1ELi4EEEENST_IJLi2ELi1ELi128ELi1EEEENST_IJLi1ELi2ELi0ELi3EEEES1Z_NST_IJLi4ELi1ELi1ELi4EEEES1Z_NST_IJLi1ELi1ELi1ELi4EEEES1X_S1Y_S1Z_S1Z_S20_S1Z_S21_NST_IJLi0ELi1ELi2ELi3ELi4ELi5EEEELi5ELi4EEEaNS5_IJPKaEEEaS8_S8_S9_NSB_INS5_IJSE_SG_SI_SI_SG_SG_SK_SK_SG_SN_SN_SP_SP_SR_SG_SG_NSQ_INS5_IJiNS_17integral_constantIiLi128EEEEEELb0EEENSF_INS27_IiLi4EEEEEEEENS5_IJSU_SV_SW_SX_SY_SZ_S10_S11_S12_S13_S14_S15_S16_S17_S18_NST_IJLi19EEEES1G_NST_IJLi20EEEEEEENS5_IJS1A_SZ_S10_S11_S12_S1B_S1C_S1D_S1E_S15_S16_S18_S17_S1F_S1G_NST_IJLi22EEEENST_IJLi23ELi24EEEENST_IJLi25EEEEEEENST_IJLi22ELi23ELi24ELi25EEEElEENSB_INS5_IJSR_SP_SP_SR_SG_SG_S2A_S2C_EEENS5_IJSU_SV_SW_SY_SX_SZ_S11_S10_EEENS5_IJS1M_SX_SY_S1N_S11_S12_NST_IJLi9ELi10EEEENST_IJLi11EEEEEEENST_IJLi8ELi9ELi10ELi11EEEElEENS5_IJNSB_INS5_IJSK_SP_SP_NSQ_INS5_IJiNS27_IiLi2EEENS27_IiLi64EEEEEELb0EEES2X_EEENS5_IJSU_SV_SW_SX_SY_EEENS5_IJS1M_SX_SY_NST_IJLi5ELi6ELi7EEEENST_IJLi8ELi9ELi10EEEEEEENST_IJLi5ELi6ELi7ELi8ELi9ELi10EEEElEEEEES34_NS_31BlockToCTileMap_M00_N00_M01_N01ILi128ELi128ES1V_Lb0EEENS1_30ComputePtrOffsetOfStridedBatchILi1ELi1ELi1EvEELb0ELb1EEEvPKT0_S3C_T1_PT2_T3_T4_T5_iT6_T7_T8_T9_T10_T11_, .Lfunc_end7-_ZN2ck16tensor_operation6device12_GLOBAL__N_137kernel_grouped_conv_fwd_dl_multiple_dINS_32GridwiseGemmDlMultipleD_km_kn_mnILi256EaiNS_5TupleIJaEEEaNS0_12element_wise11PassThroughES8_NS7_7AddReluELNS_25InMemoryDataOperationEnumE0ENS_16TensorDescriptorINS5_IJNS_5EmbedINS5_IJiiiiEEESD_Lb0EEENS_11PassThroughIiEENS_3PadIiiiLb0EEESI_SG_SG_NSC_INS5_IJiiEEESJ_Lb0EEESK_SG_NS_23Merge_v2_magic_divisionINS5_IJiiiEEEEESN_NS_8RightPadIiiLb0EEESP_NS_7UnMergeISJ_Lb0EEESG_EEENS5_IJNS_8SequenceIJLi0EEEENST_IJLi1EEEENST_IJLi2EEEENST_IJLi3EEEENST_IJLi4EEEENST_IJLi5EEEENST_IJLi6EEEENST_IJLi7EEEENST_IJLi8EEEENST_IJLi9ELi11ELi13EEEENST_IJLi10ELi12ELi14EEEENST_IJLi15EEEENST_IJLi16EEEENST_IJLi18EEEENST_IJLi17EEEEEEENS5_IJNST_IJLi1ELi2ELi3ELi4EEEESZ_S10_S11_S12_NST_IJLi9EEEENST_IJLi10ELi11EEEENST_IJLi12ELi13EEEENST_IJLi14EEEES15_S16_S18_S17_NST_IJLi19ELi20EEEENST_IJLi21EEEEEEENST_IJLi19ELi21ELi20EEEElEENSB_INS5_IJSR_SP_SP_SR_SG_EEENS5_IJSU_SV_SW_SY_SX_EEENS5_IJNST_IJLi1ELi2EEEESX_SY_NST_IJLi5ELi6EEEES11_EEENST_IJLi5ELi7ELi6EEEElEENSB_INS5_IJSK_SP_SP_EEENS5_IJSU_SV_SW_EEENS5_IJS1M_SX_SY_EEENST_IJLi3ELi4EEEElEELi128ELi128ELi16ELi4ELi4ELi4ELi1ENST_IJLi8ELi2EEEES1W_NST_IJLi8ELi1ELi1ELi4EEEENST_IJLi2ELi1ELi128ELi1EEEENST_IJLi1ELi2ELi0ELi3EEEES1Z_NST_IJLi4ELi1ELi1ELi4EEEES1Z_NST_IJLi1ELi1ELi1ELi4EEEES1X_S1Y_S1Z_S1Z_S20_S1Z_S21_NST_IJLi0ELi1ELi2ELi3ELi4ELi5EEEELi5ELi4EEEaNS5_IJPKaEEEaS8_S8_S9_NSB_INS5_IJSE_SG_SI_SI_SG_SG_SK_SK_SG_SN_SN_SP_SP_SR_SG_SG_NSQ_INS5_IJiNS_17integral_constantIiLi128EEEEEELb0EEENSF_INS27_IiLi4EEEEEEEENS5_IJSU_SV_SW_SX_SY_SZ_S10_S11_S12_S13_S14_S15_S16_S17_S18_NST_IJLi19EEEES1G_NST_IJLi20EEEEEEENS5_IJS1A_SZ_S10_S11_S12_S1B_S1C_S1D_S1E_S15_S16_S18_S17_S1F_S1G_NST_IJLi22EEEENST_IJLi23ELi24EEEENST_IJLi25EEEEEEENST_IJLi22ELi23ELi24ELi25EEEElEENSB_INS5_IJSR_SP_SP_SR_SG_SG_S2A_S2C_EEENS5_IJSU_SV_SW_SY_SX_SZ_S11_S10_EEENS5_IJS1M_SX_SY_S1N_S11_S12_NST_IJLi9ELi10EEEENST_IJLi11EEEEEEENST_IJLi8ELi9ELi10ELi11EEEElEENS5_IJNSB_INS5_IJSK_SP_SP_NSQ_INS5_IJiNS27_IiLi2EEENS27_IiLi64EEEEEELb0EEES2X_EEENS5_IJSU_SV_SW_SX_SY_EEENS5_IJS1M_SX_SY_NST_IJLi5ELi6ELi7EEEENST_IJLi8ELi9ELi10EEEEEEENST_IJLi5ELi6ELi7ELi8ELi9ELi10EEEElEEEEES34_NS_31BlockToCTileMap_M00_N00_M01_N01ILi128ELi128ES1V_Lb0EEENS1_30ComputePtrOffsetOfStridedBatchILi1ELi1ELi1EvEELb0ELb1EEEvPKT0_S3C_T1_PT2_T3_T4_T5_iT6_T7_T8_T9_T10_T11_
                                        ; -- End function
	.set _ZN2ck16tensor_operation6device12_GLOBAL__N_137kernel_grouped_conv_fwd_dl_multiple_dINS_32GridwiseGemmDlMultipleD_km_kn_mnILi256EaiNS_5TupleIJaEEEaNS0_12element_wise11PassThroughES8_NS7_7AddReluELNS_25InMemoryDataOperationEnumE0ENS_16TensorDescriptorINS5_IJNS_5EmbedINS5_IJiiiiEEESD_Lb0EEENS_11PassThroughIiEENS_3PadIiiiLb0EEESI_SG_SG_NSC_INS5_IJiiEEESJ_Lb0EEESK_SG_NS_23Merge_v2_magic_divisionINS5_IJiiiEEEEESN_NS_8RightPadIiiLb0EEESP_NS_7UnMergeISJ_Lb0EEESG_EEENS5_IJNS_8SequenceIJLi0EEEENST_IJLi1EEEENST_IJLi2EEEENST_IJLi3EEEENST_IJLi4EEEENST_IJLi5EEEENST_IJLi6EEEENST_IJLi7EEEENST_IJLi8EEEENST_IJLi9ELi11ELi13EEEENST_IJLi10ELi12ELi14EEEENST_IJLi15EEEENST_IJLi16EEEENST_IJLi18EEEENST_IJLi17EEEEEEENS5_IJNST_IJLi1ELi2ELi3ELi4EEEESZ_S10_S11_S12_NST_IJLi9EEEENST_IJLi10ELi11EEEENST_IJLi12ELi13EEEENST_IJLi14EEEES15_S16_S18_S17_NST_IJLi19ELi20EEEENST_IJLi21EEEEEEENST_IJLi19ELi21ELi20EEEElEENSB_INS5_IJSR_SP_SP_SR_SG_EEENS5_IJSU_SV_SW_SY_SX_EEENS5_IJNST_IJLi1ELi2EEEESX_SY_NST_IJLi5ELi6EEEES11_EEENST_IJLi5ELi7ELi6EEEElEENSB_INS5_IJSK_SP_SP_EEENS5_IJSU_SV_SW_EEENS5_IJS1M_SX_SY_EEENST_IJLi3ELi4EEEElEELi128ELi128ELi16ELi4ELi4ELi4ELi1ENST_IJLi8ELi2EEEES1W_NST_IJLi8ELi1ELi1ELi4EEEENST_IJLi2ELi1ELi128ELi1EEEENST_IJLi1ELi2ELi0ELi3EEEES1Z_NST_IJLi4ELi1ELi1ELi4EEEES1Z_NST_IJLi1ELi1ELi1ELi4EEEES1X_S1Y_S1Z_S1Z_S20_S1Z_S21_NST_IJLi0ELi1ELi2ELi3ELi4ELi5EEEELi5ELi4EEEaNS5_IJPKaEEEaS8_S8_S9_NSB_INS5_IJSE_SG_SI_SI_SG_SG_SK_SK_SG_SN_SN_SP_SP_SR_SG_SG_NSQ_INS5_IJiNS_17integral_constantIiLi128EEEEEELb0EEENSF_INS27_IiLi4EEEEEEEENS5_IJSU_SV_SW_SX_SY_SZ_S10_S11_S12_S13_S14_S15_S16_S17_S18_NST_IJLi19EEEES1G_NST_IJLi20EEEEEEENS5_IJS1A_SZ_S10_S11_S12_S1B_S1C_S1D_S1E_S15_S16_S18_S17_S1F_S1G_NST_IJLi22EEEENST_IJLi23ELi24EEEENST_IJLi25EEEEEEENST_IJLi22ELi23ELi24ELi25EEEElEENSB_INS5_IJSR_SP_SP_SR_SG_SG_S2A_S2C_EEENS5_IJSU_SV_SW_SY_SX_SZ_S11_S10_EEENS5_IJS1M_SX_SY_S1N_S11_S12_NST_IJLi9ELi10EEEENST_IJLi11EEEEEEENST_IJLi8ELi9ELi10ELi11EEEElEENS5_IJNSB_INS5_IJSK_SP_SP_NSQ_INS5_IJiNS27_IiLi2EEENS27_IiLi64EEEEEELb0EEES2X_EEENS5_IJSU_SV_SW_SX_SY_EEENS5_IJS1M_SX_SY_NST_IJLi5ELi6ELi7EEEENST_IJLi8ELi9ELi10EEEEEEENST_IJLi5ELi6ELi7ELi8ELi9ELi10EEEElEEEEES34_NS_31BlockToCTileMap_M00_N00_M01_N01ILi128ELi128ES1V_Lb0EEENS1_30ComputePtrOffsetOfStridedBatchILi1ELi1ELi1EvEELb0ELb1EEEvPKT0_S3C_T1_PT2_T3_T4_T5_iT6_T7_T8_T9_T10_T11_.num_vgpr, 189
	.set _ZN2ck16tensor_operation6device12_GLOBAL__N_137kernel_grouped_conv_fwd_dl_multiple_dINS_32GridwiseGemmDlMultipleD_km_kn_mnILi256EaiNS_5TupleIJaEEEaNS0_12element_wise11PassThroughES8_NS7_7AddReluELNS_25InMemoryDataOperationEnumE0ENS_16TensorDescriptorINS5_IJNS_5EmbedINS5_IJiiiiEEESD_Lb0EEENS_11PassThroughIiEENS_3PadIiiiLb0EEESI_SG_SG_NSC_INS5_IJiiEEESJ_Lb0EEESK_SG_NS_23Merge_v2_magic_divisionINS5_IJiiiEEEEESN_NS_8RightPadIiiLb0EEESP_NS_7UnMergeISJ_Lb0EEESG_EEENS5_IJNS_8SequenceIJLi0EEEENST_IJLi1EEEENST_IJLi2EEEENST_IJLi3EEEENST_IJLi4EEEENST_IJLi5EEEENST_IJLi6EEEENST_IJLi7EEEENST_IJLi8EEEENST_IJLi9ELi11ELi13EEEENST_IJLi10ELi12ELi14EEEENST_IJLi15EEEENST_IJLi16EEEENST_IJLi18EEEENST_IJLi17EEEEEEENS5_IJNST_IJLi1ELi2ELi3ELi4EEEESZ_S10_S11_S12_NST_IJLi9EEEENST_IJLi10ELi11EEEENST_IJLi12ELi13EEEENST_IJLi14EEEES15_S16_S18_S17_NST_IJLi19ELi20EEEENST_IJLi21EEEEEEENST_IJLi19ELi21ELi20EEEElEENSB_INS5_IJSR_SP_SP_SR_SG_EEENS5_IJSU_SV_SW_SY_SX_EEENS5_IJNST_IJLi1ELi2EEEESX_SY_NST_IJLi5ELi6EEEES11_EEENST_IJLi5ELi7ELi6EEEElEENSB_INS5_IJSK_SP_SP_EEENS5_IJSU_SV_SW_EEENS5_IJS1M_SX_SY_EEENST_IJLi3ELi4EEEElEELi128ELi128ELi16ELi4ELi4ELi4ELi1ENST_IJLi8ELi2EEEES1W_NST_IJLi8ELi1ELi1ELi4EEEENST_IJLi2ELi1ELi128ELi1EEEENST_IJLi1ELi2ELi0ELi3EEEES1Z_NST_IJLi4ELi1ELi1ELi4EEEES1Z_NST_IJLi1ELi1ELi1ELi4EEEES1X_S1Y_S1Z_S1Z_S20_S1Z_S21_NST_IJLi0ELi1ELi2ELi3ELi4ELi5EEEELi5ELi4EEEaNS5_IJPKaEEEaS8_S8_S9_NSB_INS5_IJSE_SG_SI_SI_SG_SG_SK_SK_SG_SN_SN_SP_SP_SR_SG_SG_NSQ_INS5_IJiNS_17integral_constantIiLi128EEEEEELb0EEENSF_INS27_IiLi4EEEEEEEENS5_IJSU_SV_SW_SX_SY_SZ_S10_S11_S12_S13_S14_S15_S16_S17_S18_NST_IJLi19EEEES1G_NST_IJLi20EEEEEEENS5_IJS1A_SZ_S10_S11_S12_S1B_S1C_S1D_S1E_S15_S16_S18_S17_S1F_S1G_NST_IJLi22EEEENST_IJLi23ELi24EEEENST_IJLi25EEEEEEENST_IJLi22ELi23ELi24ELi25EEEElEENSB_INS5_IJSR_SP_SP_SR_SG_SG_S2A_S2C_EEENS5_IJSU_SV_SW_SY_SX_SZ_S11_S10_EEENS5_IJS1M_SX_SY_S1N_S11_S12_NST_IJLi9ELi10EEEENST_IJLi11EEEEEEENST_IJLi8ELi9ELi10ELi11EEEElEENS5_IJNSB_INS5_IJSK_SP_SP_NSQ_INS5_IJiNS27_IiLi2EEENS27_IiLi64EEEEEELb0EEES2X_EEENS5_IJSU_SV_SW_SX_SY_EEENS5_IJS1M_SX_SY_NST_IJLi5ELi6ELi7EEEENST_IJLi8ELi9ELi10EEEEEEENST_IJLi5ELi6ELi7ELi8ELi9ELi10EEEElEEEEES34_NS_31BlockToCTileMap_M00_N00_M01_N01ILi128ELi128ES1V_Lb0EEENS1_30ComputePtrOffsetOfStridedBatchILi1ELi1ELi1EvEELb0ELb1EEEvPKT0_S3C_T1_PT2_T3_T4_T5_iT6_T7_T8_T9_T10_T11_.num_agpr, 0
	.set _ZN2ck16tensor_operation6device12_GLOBAL__N_137kernel_grouped_conv_fwd_dl_multiple_dINS_32GridwiseGemmDlMultipleD_km_kn_mnILi256EaiNS_5TupleIJaEEEaNS0_12element_wise11PassThroughES8_NS7_7AddReluELNS_25InMemoryDataOperationEnumE0ENS_16TensorDescriptorINS5_IJNS_5EmbedINS5_IJiiiiEEESD_Lb0EEENS_11PassThroughIiEENS_3PadIiiiLb0EEESI_SG_SG_NSC_INS5_IJiiEEESJ_Lb0EEESK_SG_NS_23Merge_v2_magic_divisionINS5_IJiiiEEEEESN_NS_8RightPadIiiLb0EEESP_NS_7UnMergeISJ_Lb0EEESG_EEENS5_IJNS_8SequenceIJLi0EEEENST_IJLi1EEEENST_IJLi2EEEENST_IJLi3EEEENST_IJLi4EEEENST_IJLi5EEEENST_IJLi6EEEENST_IJLi7EEEENST_IJLi8EEEENST_IJLi9ELi11ELi13EEEENST_IJLi10ELi12ELi14EEEENST_IJLi15EEEENST_IJLi16EEEENST_IJLi18EEEENST_IJLi17EEEEEEENS5_IJNST_IJLi1ELi2ELi3ELi4EEEESZ_S10_S11_S12_NST_IJLi9EEEENST_IJLi10ELi11EEEENST_IJLi12ELi13EEEENST_IJLi14EEEES15_S16_S18_S17_NST_IJLi19ELi20EEEENST_IJLi21EEEEEEENST_IJLi19ELi21ELi20EEEElEENSB_INS5_IJSR_SP_SP_SR_SG_EEENS5_IJSU_SV_SW_SY_SX_EEENS5_IJNST_IJLi1ELi2EEEESX_SY_NST_IJLi5ELi6EEEES11_EEENST_IJLi5ELi7ELi6EEEElEENSB_INS5_IJSK_SP_SP_EEENS5_IJSU_SV_SW_EEENS5_IJS1M_SX_SY_EEENST_IJLi3ELi4EEEElEELi128ELi128ELi16ELi4ELi4ELi4ELi1ENST_IJLi8ELi2EEEES1W_NST_IJLi8ELi1ELi1ELi4EEEENST_IJLi2ELi1ELi128ELi1EEEENST_IJLi1ELi2ELi0ELi3EEEES1Z_NST_IJLi4ELi1ELi1ELi4EEEES1Z_NST_IJLi1ELi1ELi1ELi4EEEES1X_S1Y_S1Z_S1Z_S20_S1Z_S21_NST_IJLi0ELi1ELi2ELi3ELi4ELi5EEEELi5ELi4EEEaNS5_IJPKaEEEaS8_S8_S9_NSB_INS5_IJSE_SG_SI_SI_SG_SG_SK_SK_SG_SN_SN_SP_SP_SR_SG_SG_NSQ_INS5_IJiNS_17integral_constantIiLi128EEEEEELb0EEENSF_INS27_IiLi4EEEEEEEENS5_IJSU_SV_SW_SX_SY_SZ_S10_S11_S12_S13_S14_S15_S16_S17_S18_NST_IJLi19EEEES1G_NST_IJLi20EEEEEEENS5_IJS1A_SZ_S10_S11_S12_S1B_S1C_S1D_S1E_S15_S16_S18_S17_S1F_S1G_NST_IJLi22EEEENST_IJLi23ELi24EEEENST_IJLi25EEEEEEENST_IJLi22ELi23ELi24ELi25EEEElEENSB_INS5_IJSR_SP_SP_SR_SG_SG_S2A_S2C_EEENS5_IJSU_SV_SW_SY_SX_SZ_S11_S10_EEENS5_IJS1M_SX_SY_S1N_S11_S12_NST_IJLi9ELi10EEEENST_IJLi11EEEEEEENST_IJLi8ELi9ELi10ELi11EEEElEENS5_IJNSB_INS5_IJSK_SP_SP_NSQ_INS5_IJiNS27_IiLi2EEENS27_IiLi64EEEEEELb0EEES2X_EEENS5_IJSU_SV_SW_SX_SY_EEENS5_IJS1M_SX_SY_NST_IJLi5ELi6ELi7EEEENST_IJLi8ELi9ELi10EEEEEEENST_IJLi5ELi6ELi7ELi8ELi9ELi10EEEElEEEEES34_NS_31BlockToCTileMap_M00_N00_M01_N01ILi128ELi128ES1V_Lb0EEENS1_30ComputePtrOffsetOfStridedBatchILi1ELi1ELi1EvEELb0ELb1EEEvPKT0_S3C_T1_PT2_T3_T4_T5_iT6_T7_T8_T9_T10_T11_.numbered_sgpr, 71
	.set _ZN2ck16tensor_operation6device12_GLOBAL__N_137kernel_grouped_conv_fwd_dl_multiple_dINS_32GridwiseGemmDlMultipleD_km_kn_mnILi256EaiNS_5TupleIJaEEEaNS0_12element_wise11PassThroughES8_NS7_7AddReluELNS_25InMemoryDataOperationEnumE0ENS_16TensorDescriptorINS5_IJNS_5EmbedINS5_IJiiiiEEESD_Lb0EEENS_11PassThroughIiEENS_3PadIiiiLb0EEESI_SG_SG_NSC_INS5_IJiiEEESJ_Lb0EEESK_SG_NS_23Merge_v2_magic_divisionINS5_IJiiiEEEEESN_NS_8RightPadIiiLb0EEESP_NS_7UnMergeISJ_Lb0EEESG_EEENS5_IJNS_8SequenceIJLi0EEEENST_IJLi1EEEENST_IJLi2EEEENST_IJLi3EEEENST_IJLi4EEEENST_IJLi5EEEENST_IJLi6EEEENST_IJLi7EEEENST_IJLi8EEEENST_IJLi9ELi11ELi13EEEENST_IJLi10ELi12ELi14EEEENST_IJLi15EEEENST_IJLi16EEEENST_IJLi18EEEENST_IJLi17EEEEEEENS5_IJNST_IJLi1ELi2ELi3ELi4EEEESZ_S10_S11_S12_NST_IJLi9EEEENST_IJLi10ELi11EEEENST_IJLi12ELi13EEEENST_IJLi14EEEES15_S16_S18_S17_NST_IJLi19ELi20EEEENST_IJLi21EEEEEEENST_IJLi19ELi21ELi20EEEElEENSB_INS5_IJSR_SP_SP_SR_SG_EEENS5_IJSU_SV_SW_SY_SX_EEENS5_IJNST_IJLi1ELi2EEEESX_SY_NST_IJLi5ELi6EEEES11_EEENST_IJLi5ELi7ELi6EEEElEENSB_INS5_IJSK_SP_SP_EEENS5_IJSU_SV_SW_EEENS5_IJS1M_SX_SY_EEENST_IJLi3ELi4EEEElEELi128ELi128ELi16ELi4ELi4ELi4ELi1ENST_IJLi8ELi2EEEES1W_NST_IJLi8ELi1ELi1ELi4EEEENST_IJLi2ELi1ELi128ELi1EEEENST_IJLi1ELi2ELi0ELi3EEEES1Z_NST_IJLi4ELi1ELi1ELi4EEEES1Z_NST_IJLi1ELi1ELi1ELi4EEEES1X_S1Y_S1Z_S1Z_S20_S1Z_S21_NST_IJLi0ELi1ELi2ELi3ELi4ELi5EEEELi5ELi4EEEaNS5_IJPKaEEEaS8_S8_S9_NSB_INS5_IJSE_SG_SI_SI_SG_SG_SK_SK_SG_SN_SN_SP_SP_SR_SG_SG_NSQ_INS5_IJiNS_17integral_constantIiLi128EEEEEELb0EEENSF_INS27_IiLi4EEEEEEEENS5_IJSU_SV_SW_SX_SY_SZ_S10_S11_S12_S13_S14_S15_S16_S17_S18_NST_IJLi19EEEES1G_NST_IJLi20EEEEEEENS5_IJS1A_SZ_S10_S11_S12_S1B_S1C_S1D_S1E_S15_S16_S18_S17_S1F_S1G_NST_IJLi22EEEENST_IJLi23ELi24EEEENST_IJLi25EEEEEEENST_IJLi22ELi23ELi24ELi25EEEElEENSB_INS5_IJSR_SP_SP_SR_SG_SG_S2A_S2C_EEENS5_IJSU_SV_SW_SY_SX_SZ_S11_S10_EEENS5_IJS1M_SX_SY_S1N_S11_S12_NST_IJLi9ELi10EEEENST_IJLi11EEEEEEENST_IJLi8ELi9ELi10ELi11EEEElEENS5_IJNSB_INS5_IJSK_SP_SP_NSQ_INS5_IJiNS27_IiLi2EEENS27_IiLi64EEEEEELb0EEES2X_EEENS5_IJSU_SV_SW_SX_SY_EEENS5_IJS1M_SX_SY_NST_IJLi5ELi6ELi7EEEENST_IJLi8ELi9ELi10EEEEEEENST_IJLi5ELi6ELi7ELi8ELi9ELi10EEEElEEEEES34_NS_31BlockToCTileMap_M00_N00_M01_N01ILi128ELi128ES1V_Lb0EEENS1_30ComputePtrOffsetOfStridedBatchILi1ELi1ELi1EvEELb0ELb1EEEvPKT0_S3C_T1_PT2_T3_T4_T5_iT6_T7_T8_T9_T10_T11_.num_named_barrier, 0
	.set _ZN2ck16tensor_operation6device12_GLOBAL__N_137kernel_grouped_conv_fwd_dl_multiple_dINS_32GridwiseGemmDlMultipleD_km_kn_mnILi256EaiNS_5TupleIJaEEEaNS0_12element_wise11PassThroughES8_NS7_7AddReluELNS_25InMemoryDataOperationEnumE0ENS_16TensorDescriptorINS5_IJNS_5EmbedINS5_IJiiiiEEESD_Lb0EEENS_11PassThroughIiEENS_3PadIiiiLb0EEESI_SG_SG_NSC_INS5_IJiiEEESJ_Lb0EEESK_SG_NS_23Merge_v2_magic_divisionINS5_IJiiiEEEEESN_NS_8RightPadIiiLb0EEESP_NS_7UnMergeISJ_Lb0EEESG_EEENS5_IJNS_8SequenceIJLi0EEEENST_IJLi1EEEENST_IJLi2EEEENST_IJLi3EEEENST_IJLi4EEEENST_IJLi5EEEENST_IJLi6EEEENST_IJLi7EEEENST_IJLi8EEEENST_IJLi9ELi11ELi13EEEENST_IJLi10ELi12ELi14EEEENST_IJLi15EEEENST_IJLi16EEEENST_IJLi18EEEENST_IJLi17EEEEEEENS5_IJNST_IJLi1ELi2ELi3ELi4EEEESZ_S10_S11_S12_NST_IJLi9EEEENST_IJLi10ELi11EEEENST_IJLi12ELi13EEEENST_IJLi14EEEES15_S16_S18_S17_NST_IJLi19ELi20EEEENST_IJLi21EEEEEEENST_IJLi19ELi21ELi20EEEElEENSB_INS5_IJSR_SP_SP_SR_SG_EEENS5_IJSU_SV_SW_SY_SX_EEENS5_IJNST_IJLi1ELi2EEEESX_SY_NST_IJLi5ELi6EEEES11_EEENST_IJLi5ELi7ELi6EEEElEENSB_INS5_IJSK_SP_SP_EEENS5_IJSU_SV_SW_EEENS5_IJS1M_SX_SY_EEENST_IJLi3ELi4EEEElEELi128ELi128ELi16ELi4ELi4ELi4ELi1ENST_IJLi8ELi2EEEES1W_NST_IJLi8ELi1ELi1ELi4EEEENST_IJLi2ELi1ELi128ELi1EEEENST_IJLi1ELi2ELi0ELi3EEEES1Z_NST_IJLi4ELi1ELi1ELi4EEEES1Z_NST_IJLi1ELi1ELi1ELi4EEEES1X_S1Y_S1Z_S1Z_S20_S1Z_S21_NST_IJLi0ELi1ELi2ELi3ELi4ELi5EEEELi5ELi4EEEaNS5_IJPKaEEEaS8_S8_S9_NSB_INS5_IJSE_SG_SI_SI_SG_SG_SK_SK_SG_SN_SN_SP_SP_SR_SG_SG_NSQ_INS5_IJiNS_17integral_constantIiLi128EEEEEELb0EEENSF_INS27_IiLi4EEEEEEEENS5_IJSU_SV_SW_SX_SY_SZ_S10_S11_S12_S13_S14_S15_S16_S17_S18_NST_IJLi19EEEES1G_NST_IJLi20EEEEEEENS5_IJS1A_SZ_S10_S11_S12_S1B_S1C_S1D_S1E_S15_S16_S18_S17_S1F_S1G_NST_IJLi22EEEENST_IJLi23ELi24EEEENST_IJLi25EEEEEEENST_IJLi22ELi23ELi24ELi25EEEElEENSB_INS5_IJSR_SP_SP_SR_SG_SG_S2A_S2C_EEENS5_IJSU_SV_SW_SY_SX_SZ_S11_S10_EEENS5_IJS1M_SX_SY_S1N_S11_S12_NST_IJLi9ELi10EEEENST_IJLi11EEEEEEENST_IJLi8ELi9ELi10ELi11EEEElEENS5_IJNSB_INS5_IJSK_SP_SP_NSQ_INS5_IJiNS27_IiLi2EEENS27_IiLi64EEEEEELb0EEES2X_EEENS5_IJSU_SV_SW_SX_SY_EEENS5_IJS1M_SX_SY_NST_IJLi5ELi6ELi7EEEENST_IJLi8ELi9ELi10EEEEEEENST_IJLi5ELi6ELi7ELi8ELi9ELi10EEEElEEEEES34_NS_31BlockToCTileMap_M00_N00_M01_N01ILi128ELi128ES1V_Lb0EEENS1_30ComputePtrOffsetOfStridedBatchILi1ELi1ELi1EvEELb0ELb1EEEvPKT0_S3C_T1_PT2_T3_T4_T5_iT6_T7_T8_T9_T10_T11_.private_seg_size, 0
	.set _ZN2ck16tensor_operation6device12_GLOBAL__N_137kernel_grouped_conv_fwd_dl_multiple_dINS_32GridwiseGemmDlMultipleD_km_kn_mnILi256EaiNS_5TupleIJaEEEaNS0_12element_wise11PassThroughES8_NS7_7AddReluELNS_25InMemoryDataOperationEnumE0ENS_16TensorDescriptorINS5_IJNS_5EmbedINS5_IJiiiiEEESD_Lb0EEENS_11PassThroughIiEENS_3PadIiiiLb0EEESI_SG_SG_NSC_INS5_IJiiEEESJ_Lb0EEESK_SG_NS_23Merge_v2_magic_divisionINS5_IJiiiEEEEESN_NS_8RightPadIiiLb0EEESP_NS_7UnMergeISJ_Lb0EEESG_EEENS5_IJNS_8SequenceIJLi0EEEENST_IJLi1EEEENST_IJLi2EEEENST_IJLi3EEEENST_IJLi4EEEENST_IJLi5EEEENST_IJLi6EEEENST_IJLi7EEEENST_IJLi8EEEENST_IJLi9ELi11ELi13EEEENST_IJLi10ELi12ELi14EEEENST_IJLi15EEEENST_IJLi16EEEENST_IJLi18EEEENST_IJLi17EEEEEEENS5_IJNST_IJLi1ELi2ELi3ELi4EEEESZ_S10_S11_S12_NST_IJLi9EEEENST_IJLi10ELi11EEEENST_IJLi12ELi13EEEENST_IJLi14EEEES15_S16_S18_S17_NST_IJLi19ELi20EEEENST_IJLi21EEEEEEENST_IJLi19ELi21ELi20EEEElEENSB_INS5_IJSR_SP_SP_SR_SG_EEENS5_IJSU_SV_SW_SY_SX_EEENS5_IJNST_IJLi1ELi2EEEESX_SY_NST_IJLi5ELi6EEEES11_EEENST_IJLi5ELi7ELi6EEEElEENSB_INS5_IJSK_SP_SP_EEENS5_IJSU_SV_SW_EEENS5_IJS1M_SX_SY_EEENST_IJLi3ELi4EEEElEELi128ELi128ELi16ELi4ELi4ELi4ELi1ENST_IJLi8ELi2EEEES1W_NST_IJLi8ELi1ELi1ELi4EEEENST_IJLi2ELi1ELi128ELi1EEEENST_IJLi1ELi2ELi0ELi3EEEES1Z_NST_IJLi4ELi1ELi1ELi4EEEES1Z_NST_IJLi1ELi1ELi1ELi4EEEES1X_S1Y_S1Z_S1Z_S20_S1Z_S21_NST_IJLi0ELi1ELi2ELi3ELi4ELi5EEEELi5ELi4EEEaNS5_IJPKaEEEaS8_S8_S9_NSB_INS5_IJSE_SG_SI_SI_SG_SG_SK_SK_SG_SN_SN_SP_SP_SR_SG_SG_NSQ_INS5_IJiNS_17integral_constantIiLi128EEEEEELb0EEENSF_INS27_IiLi4EEEEEEEENS5_IJSU_SV_SW_SX_SY_SZ_S10_S11_S12_S13_S14_S15_S16_S17_S18_NST_IJLi19EEEES1G_NST_IJLi20EEEEEEENS5_IJS1A_SZ_S10_S11_S12_S1B_S1C_S1D_S1E_S15_S16_S18_S17_S1F_S1G_NST_IJLi22EEEENST_IJLi23ELi24EEEENST_IJLi25EEEEEEENST_IJLi22ELi23ELi24ELi25EEEElEENSB_INS5_IJSR_SP_SP_SR_SG_SG_S2A_S2C_EEENS5_IJSU_SV_SW_SY_SX_SZ_S11_S10_EEENS5_IJS1M_SX_SY_S1N_S11_S12_NST_IJLi9ELi10EEEENST_IJLi11EEEEEEENST_IJLi8ELi9ELi10ELi11EEEElEENS5_IJNSB_INS5_IJSK_SP_SP_NSQ_INS5_IJiNS27_IiLi2EEENS27_IiLi64EEEEEELb0EEES2X_EEENS5_IJSU_SV_SW_SX_SY_EEENS5_IJS1M_SX_SY_NST_IJLi5ELi6ELi7EEEENST_IJLi8ELi9ELi10EEEEEEENST_IJLi5ELi6ELi7ELi8ELi9ELi10EEEElEEEEES34_NS_31BlockToCTileMap_M00_N00_M01_N01ILi128ELi128ES1V_Lb0EEENS1_30ComputePtrOffsetOfStridedBatchILi1ELi1ELi1EvEELb0ELb1EEEvPKT0_S3C_T1_PT2_T3_T4_T5_iT6_T7_T8_T9_T10_T11_.uses_vcc, 1
	.set _ZN2ck16tensor_operation6device12_GLOBAL__N_137kernel_grouped_conv_fwd_dl_multiple_dINS_32GridwiseGemmDlMultipleD_km_kn_mnILi256EaiNS_5TupleIJaEEEaNS0_12element_wise11PassThroughES8_NS7_7AddReluELNS_25InMemoryDataOperationEnumE0ENS_16TensorDescriptorINS5_IJNS_5EmbedINS5_IJiiiiEEESD_Lb0EEENS_11PassThroughIiEENS_3PadIiiiLb0EEESI_SG_SG_NSC_INS5_IJiiEEESJ_Lb0EEESK_SG_NS_23Merge_v2_magic_divisionINS5_IJiiiEEEEESN_NS_8RightPadIiiLb0EEESP_NS_7UnMergeISJ_Lb0EEESG_EEENS5_IJNS_8SequenceIJLi0EEEENST_IJLi1EEEENST_IJLi2EEEENST_IJLi3EEEENST_IJLi4EEEENST_IJLi5EEEENST_IJLi6EEEENST_IJLi7EEEENST_IJLi8EEEENST_IJLi9ELi11ELi13EEEENST_IJLi10ELi12ELi14EEEENST_IJLi15EEEENST_IJLi16EEEENST_IJLi18EEEENST_IJLi17EEEEEEENS5_IJNST_IJLi1ELi2ELi3ELi4EEEESZ_S10_S11_S12_NST_IJLi9EEEENST_IJLi10ELi11EEEENST_IJLi12ELi13EEEENST_IJLi14EEEES15_S16_S18_S17_NST_IJLi19ELi20EEEENST_IJLi21EEEEEEENST_IJLi19ELi21ELi20EEEElEENSB_INS5_IJSR_SP_SP_SR_SG_EEENS5_IJSU_SV_SW_SY_SX_EEENS5_IJNST_IJLi1ELi2EEEESX_SY_NST_IJLi5ELi6EEEES11_EEENST_IJLi5ELi7ELi6EEEElEENSB_INS5_IJSK_SP_SP_EEENS5_IJSU_SV_SW_EEENS5_IJS1M_SX_SY_EEENST_IJLi3ELi4EEEElEELi128ELi128ELi16ELi4ELi4ELi4ELi1ENST_IJLi8ELi2EEEES1W_NST_IJLi8ELi1ELi1ELi4EEEENST_IJLi2ELi1ELi128ELi1EEEENST_IJLi1ELi2ELi0ELi3EEEES1Z_NST_IJLi4ELi1ELi1ELi4EEEES1Z_NST_IJLi1ELi1ELi1ELi4EEEES1X_S1Y_S1Z_S1Z_S20_S1Z_S21_NST_IJLi0ELi1ELi2ELi3ELi4ELi5EEEELi5ELi4EEEaNS5_IJPKaEEEaS8_S8_S9_NSB_INS5_IJSE_SG_SI_SI_SG_SG_SK_SK_SG_SN_SN_SP_SP_SR_SG_SG_NSQ_INS5_IJiNS_17integral_constantIiLi128EEEEEELb0EEENSF_INS27_IiLi4EEEEEEEENS5_IJSU_SV_SW_SX_SY_SZ_S10_S11_S12_S13_S14_S15_S16_S17_S18_NST_IJLi19EEEES1G_NST_IJLi20EEEEEEENS5_IJS1A_SZ_S10_S11_S12_S1B_S1C_S1D_S1E_S15_S16_S18_S17_S1F_S1G_NST_IJLi22EEEENST_IJLi23ELi24EEEENST_IJLi25EEEEEEENST_IJLi22ELi23ELi24ELi25EEEElEENSB_INS5_IJSR_SP_SP_SR_SG_SG_S2A_S2C_EEENS5_IJSU_SV_SW_SY_SX_SZ_S11_S10_EEENS5_IJS1M_SX_SY_S1N_S11_S12_NST_IJLi9ELi10EEEENST_IJLi11EEEEEEENST_IJLi8ELi9ELi10ELi11EEEElEENS5_IJNSB_INS5_IJSK_SP_SP_NSQ_INS5_IJiNS27_IiLi2EEENS27_IiLi64EEEEEELb0EEES2X_EEENS5_IJSU_SV_SW_SX_SY_EEENS5_IJS1M_SX_SY_NST_IJLi5ELi6ELi7EEEENST_IJLi8ELi9ELi10EEEEEEENST_IJLi5ELi6ELi7ELi8ELi9ELi10EEEElEEEEES34_NS_31BlockToCTileMap_M00_N00_M01_N01ILi128ELi128ES1V_Lb0EEENS1_30ComputePtrOffsetOfStridedBatchILi1ELi1ELi1EvEELb0ELb1EEEvPKT0_S3C_T1_PT2_T3_T4_T5_iT6_T7_T8_T9_T10_T11_.uses_flat_scratch, 0
	.set _ZN2ck16tensor_operation6device12_GLOBAL__N_137kernel_grouped_conv_fwd_dl_multiple_dINS_32GridwiseGemmDlMultipleD_km_kn_mnILi256EaiNS_5TupleIJaEEEaNS0_12element_wise11PassThroughES8_NS7_7AddReluELNS_25InMemoryDataOperationEnumE0ENS_16TensorDescriptorINS5_IJNS_5EmbedINS5_IJiiiiEEESD_Lb0EEENS_11PassThroughIiEENS_3PadIiiiLb0EEESI_SG_SG_NSC_INS5_IJiiEEESJ_Lb0EEESK_SG_NS_23Merge_v2_magic_divisionINS5_IJiiiEEEEESN_NS_8RightPadIiiLb0EEESP_NS_7UnMergeISJ_Lb0EEESG_EEENS5_IJNS_8SequenceIJLi0EEEENST_IJLi1EEEENST_IJLi2EEEENST_IJLi3EEEENST_IJLi4EEEENST_IJLi5EEEENST_IJLi6EEEENST_IJLi7EEEENST_IJLi8EEEENST_IJLi9ELi11ELi13EEEENST_IJLi10ELi12ELi14EEEENST_IJLi15EEEENST_IJLi16EEEENST_IJLi18EEEENST_IJLi17EEEEEEENS5_IJNST_IJLi1ELi2ELi3ELi4EEEESZ_S10_S11_S12_NST_IJLi9EEEENST_IJLi10ELi11EEEENST_IJLi12ELi13EEEENST_IJLi14EEEES15_S16_S18_S17_NST_IJLi19ELi20EEEENST_IJLi21EEEEEEENST_IJLi19ELi21ELi20EEEElEENSB_INS5_IJSR_SP_SP_SR_SG_EEENS5_IJSU_SV_SW_SY_SX_EEENS5_IJNST_IJLi1ELi2EEEESX_SY_NST_IJLi5ELi6EEEES11_EEENST_IJLi5ELi7ELi6EEEElEENSB_INS5_IJSK_SP_SP_EEENS5_IJSU_SV_SW_EEENS5_IJS1M_SX_SY_EEENST_IJLi3ELi4EEEElEELi128ELi128ELi16ELi4ELi4ELi4ELi1ENST_IJLi8ELi2EEEES1W_NST_IJLi8ELi1ELi1ELi4EEEENST_IJLi2ELi1ELi128ELi1EEEENST_IJLi1ELi2ELi0ELi3EEEES1Z_NST_IJLi4ELi1ELi1ELi4EEEES1Z_NST_IJLi1ELi1ELi1ELi4EEEES1X_S1Y_S1Z_S1Z_S20_S1Z_S21_NST_IJLi0ELi1ELi2ELi3ELi4ELi5EEEELi5ELi4EEEaNS5_IJPKaEEEaS8_S8_S9_NSB_INS5_IJSE_SG_SI_SI_SG_SG_SK_SK_SG_SN_SN_SP_SP_SR_SG_SG_NSQ_INS5_IJiNS_17integral_constantIiLi128EEEEEELb0EEENSF_INS27_IiLi4EEEEEEEENS5_IJSU_SV_SW_SX_SY_SZ_S10_S11_S12_S13_S14_S15_S16_S17_S18_NST_IJLi19EEEES1G_NST_IJLi20EEEEEEENS5_IJS1A_SZ_S10_S11_S12_S1B_S1C_S1D_S1E_S15_S16_S18_S17_S1F_S1G_NST_IJLi22EEEENST_IJLi23ELi24EEEENST_IJLi25EEEEEEENST_IJLi22ELi23ELi24ELi25EEEElEENSB_INS5_IJSR_SP_SP_SR_SG_SG_S2A_S2C_EEENS5_IJSU_SV_SW_SY_SX_SZ_S11_S10_EEENS5_IJS1M_SX_SY_S1N_S11_S12_NST_IJLi9ELi10EEEENST_IJLi11EEEEEEENST_IJLi8ELi9ELi10ELi11EEEElEENS5_IJNSB_INS5_IJSK_SP_SP_NSQ_INS5_IJiNS27_IiLi2EEENS27_IiLi64EEEEEELb0EEES2X_EEENS5_IJSU_SV_SW_SX_SY_EEENS5_IJS1M_SX_SY_NST_IJLi5ELi6ELi7EEEENST_IJLi8ELi9ELi10EEEEEEENST_IJLi5ELi6ELi7ELi8ELi9ELi10EEEElEEEEES34_NS_31BlockToCTileMap_M00_N00_M01_N01ILi128ELi128ES1V_Lb0EEENS1_30ComputePtrOffsetOfStridedBatchILi1ELi1ELi1EvEELb0ELb1EEEvPKT0_S3C_T1_PT2_T3_T4_T5_iT6_T7_T8_T9_T10_T11_.has_dyn_sized_stack, 0
	.set _ZN2ck16tensor_operation6device12_GLOBAL__N_137kernel_grouped_conv_fwd_dl_multiple_dINS_32GridwiseGemmDlMultipleD_km_kn_mnILi256EaiNS_5TupleIJaEEEaNS0_12element_wise11PassThroughES8_NS7_7AddReluELNS_25InMemoryDataOperationEnumE0ENS_16TensorDescriptorINS5_IJNS_5EmbedINS5_IJiiiiEEESD_Lb0EEENS_11PassThroughIiEENS_3PadIiiiLb0EEESI_SG_SG_NSC_INS5_IJiiEEESJ_Lb0EEESK_SG_NS_23Merge_v2_magic_divisionINS5_IJiiiEEEEESN_NS_8RightPadIiiLb0EEESP_NS_7UnMergeISJ_Lb0EEESG_EEENS5_IJNS_8SequenceIJLi0EEEENST_IJLi1EEEENST_IJLi2EEEENST_IJLi3EEEENST_IJLi4EEEENST_IJLi5EEEENST_IJLi6EEEENST_IJLi7EEEENST_IJLi8EEEENST_IJLi9ELi11ELi13EEEENST_IJLi10ELi12ELi14EEEENST_IJLi15EEEENST_IJLi16EEEENST_IJLi18EEEENST_IJLi17EEEEEEENS5_IJNST_IJLi1ELi2ELi3ELi4EEEESZ_S10_S11_S12_NST_IJLi9EEEENST_IJLi10ELi11EEEENST_IJLi12ELi13EEEENST_IJLi14EEEES15_S16_S18_S17_NST_IJLi19ELi20EEEENST_IJLi21EEEEEEENST_IJLi19ELi21ELi20EEEElEENSB_INS5_IJSR_SP_SP_SR_SG_EEENS5_IJSU_SV_SW_SY_SX_EEENS5_IJNST_IJLi1ELi2EEEESX_SY_NST_IJLi5ELi6EEEES11_EEENST_IJLi5ELi7ELi6EEEElEENSB_INS5_IJSK_SP_SP_EEENS5_IJSU_SV_SW_EEENS5_IJS1M_SX_SY_EEENST_IJLi3ELi4EEEElEELi128ELi128ELi16ELi4ELi4ELi4ELi1ENST_IJLi8ELi2EEEES1W_NST_IJLi8ELi1ELi1ELi4EEEENST_IJLi2ELi1ELi128ELi1EEEENST_IJLi1ELi2ELi0ELi3EEEES1Z_NST_IJLi4ELi1ELi1ELi4EEEES1Z_NST_IJLi1ELi1ELi1ELi4EEEES1X_S1Y_S1Z_S1Z_S20_S1Z_S21_NST_IJLi0ELi1ELi2ELi3ELi4ELi5EEEELi5ELi4EEEaNS5_IJPKaEEEaS8_S8_S9_NSB_INS5_IJSE_SG_SI_SI_SG_SG_SK_SK_SG_SN_SN_SP_SP_SR_SG_SG_NSQ_INS5_IJiNS_17integral_constantIiLi128EEEEEELb0EEENSF_INS27_IiLi4EEEEEEEENS5_IJSU_SV_SW_SX_SY_SZ_S10_S11_S12_S13_S14_S15_S16_S17_S18_NST_IJLi19EEEES1G_NST_IJLi20EEEEEEENS5_IJS1A_SZ_S10_S11_S12_S1B_S1C_S1D_S1E_S15_S16_S18_S17_S1F_S1G_NST_IJLi22EEEENST_IJLi23ELi24EEEENST_IJLi25EEEEEEENST_IJLi22ELi23ELi24ELi25EEEElEENSB_INS5_IJSR_SP_SP_SR_SG_SG_S2A_S2C_EEENS5_IJSU_SV_SW_SY_SX_SZ_S11_S10_EEENS5_IJS1M_SX_SY_S1N_S11_S12_NST_IJLi9ELi10EEEENST_IJLi11EEEEEEENST_IJLi8ELi9ELi10ELi11EEEElEENS5_IJNSB_INS5_IJSK_SP_SP_NSQ_INS5_IJiNS27_IiLi2EEENS27_IiLi64EEEEEELb0EEES2X_EEENS5_IJSU_SV_SW_SX_SY_EEENS5_IJS1M_SX_SY_NST_IJLi5ELi6ELi7EEEENST_IJLi8ELi9ELi10EEEEEEENST_IJLi5ELi6ELi7ELi8ELi9ELi10EEEElEEEEES34_NS_31BlockToCTileMap_M00_N00_M01_N01ILi128ELi128ES1V_Lb0EEENS1_30ComputePtrOffsetOfStridedBatchILi1ELi1ELi1EvEELb0ELb1EEEvPKT0_S3C_T1_PT2_T3_T4_T5_iT6_T7_T8_T9_T10_T11_.has_recursion, 0
	.set _ZN2ck16tensor_operation6device12_GLOBAL__N_137kernel_grouped_conv_fwd_dl_multiple_dINS_32GridwiseGemmDlMultipleD_km_kn_mnILi256EaiNS_5TupleIJaEEEaNS0_12element_wise11PassThroughES8_NS7_7AddReluELNS_25InMemoryDataOperationEnumE0ENS_16TensorDescriptorINS5_IJNS_5EmbedINS5_IJiiiiEEESD_Lb0EEENS_11PassThroughIiEENS_3PadIiiiLb0EEESI_SG_SG_NSC_INS5_IJiiEEESJ_Lb0EEESK_SG_NS_23Merge_v2_magic_divisionINS5_IJiiiEEEEESN_NS_8RightPadIiiLb0EEESP_NS_7UnMergeISJ_Lb0EEESG_EEENS5_IJNS_8SequenceIJLi0EEEENST_IJLi1EEEENST_IJLi2EEEENST_IJLi3EEEENST_IJLi4EEEENST_IJLi5EEEENST_IJLi6EEEENST_IJLi7EEEENST_IJLi8EEEENST_IJLi9ELi11ELi13EEEENST_IJLi10ELi12ELi14EEEENST_IJLi15EEEENST_IJLi16EEEENST_IJLi18EEEENST_IJLi17EEEEEEENS5_IJNST_IJLi1ELi2ELi3ELi4EEEESZ_S10_S11_S12_NST_IJLi9EEEENST_IJLi10ELi11EEEENST_IJLi12ELi13EEEENST_IJLi14EEEES15_S16_S18_S17_NST_IJLi19ELi20EEEENST_IJLi21EEEEEEENST_IJLi19ELi21ELi20EEEElEENSB_INS5_IJSR_SP_SP_SR_SG_EEENS5_IJSU_SV_SW_SY_SX_EEENS5_IJNST_IJLi1ELi2EEEESX_SY_NST_IJLi5ELi6EEEES11_EEENST_IJLi5ELi7ELi6EEEElEENSB_INS5_IJSK_SP_SP_EEENS5_IJSU_SV_SW_EEENS5_IJS1M_SX_SY_EEENST_IJLi3ELi4EEEElEELi128ELi128ELi16ELi4ELi4ELi4ELi1ENST_IJLi8ELi2EEEES1W_NST_IJLi8ELi1ELi1ELi4EEEENST_IJLi2ELi1ELi128ELi1EEEENST_IJLi1ELi2ELi0ELi3EEEES1Z_NST_IJLi4ELi1ELi1ELi4EEEES1Z_NST_IJLi1ELi1ELi1ELi4EEEES1X_S1Y_S1Z_S1Z_S20_S1Z_S21_NST_IJLi0ELi1ELi2ELi3ELi4ELi5EEEELi5ELi4EEEaNS5_IJPKaEEEaS8_S8_S9_NSB_INS5_IJSE_SG_SI_SI_SG_SG_SK_SK_SG_SN_SN_SP_SP_SR_SG_SG_NSQ_INS5_IJiNS_17integral_constantIiLi128EEEEEELb0EEENSF_INS27_IiLi4EEEEEEEENS5_IJSU_SV_SW_SX_SY_SZ_S10_S11_S12_S13_S14_S15_S16_S17_S18_NST_IJLi19EEEES1G_NST_IJLi20EEEEEEENS5_IJS1A_SZ_S10_S11_S12_S1B_S1C_S1D_S1E_S15_S16_S18_S17_S1F_S1G_NST_IJLi22EEEENST_IJLi23ELi24EEEENST_IJLi25EEEEEEENST_IJLi22ELi23ELi24ELi25EEEElEENSB_INS5_IJSR_SP_SP_SR_SG_SG_S2A_S2C_EEENS5_IJSU_SV_SW_SY_SX_SZ_S11_S10_EEENS5_IJS1M_SX_SY_S1N_S11_S12_NST_IJLi9ELi10EEEENST_IJLi11EEEEEEENST_IJLi8ELi9ELi10ELi11EEEElEENS5_IJNSB_INS5_IJSK_SP_SP_NSQ_INS5_IJiNS27_IiLi2EEENS27_IiLi64EEEEEELb0EEES2X_EEENS5_IJSU_SV_SW_SX_SY_EEENS5_IJS1M_SX_SY_NST_IJLi5ELi6ELi7EEEENST_IJLi8ELi9ELi10EEEEEEENST_IJLi5ELi6ELi7ELi8ELi9ELi10EEEElEEEEES34_NS_31BlockToCTileMap_M00_N00_M01_N01ILi128ELi128ES1V_Lb0EEENS1_30ComputePtrOffsetOfStridedBatchILi1ELi1ELi1EvEELb0ELb1EEEvPKT0_S3C_T1_PT2_T3_T4_T5_iT6_T7_T8_T9_T10_T11_.has_indirect_call, 0
	.section	.AMDGPU.csdata,"",@progbits
; Kernel info:
; codeLenInByte = 24164
; TotalNumSgprs: 73
; NumVgprs: 189
; ScratchSize: 0
; MemoryBound: 0
; FloatMode: 240
; IeeeMode: 1
; LDSByteSize: 32768 bytes/workgroup (compile time only)
; SGPRBlocks: 0
; VGPRBlocks: 23
; NumSGPRsForWavesPerEU: 73
; NumVGPRsForWavesPerEU: 189
; Occupancy: 8
; WaveLimiterHint : 0
; COMPUTE_PGM_RSRC2:SCRATCH_EN: 0
; COMPUTE_PGM_RSRC2:USER_SGPR: 2
; COMPUTE_PGM_RSRC2:TRAP_HANDLER: 0
; COMPUTE_PGM_RSRC2:TGID_X_EN: 1
; COMPUTE_PGM_RSRC2:TGID_Y_EN: 0
; COMPUTE_PGM_RSRC2:TGID_Z_EN: 0
; COMPUTE_PGM_RSRC2:TIDIG_COMP_CNT: 0
	.section	.text._ZN2ck16tensor_operation6device12_GLOBAL__N_137kernel_grouped_conv_fwd_dl_multiple_dINS_32GridwiseGemmDlMultipleD_km_kn_mnILi256EaiNS_5TupleIJaEEEaNS0_12element_wise11PassThroughES8_NS7_7AddReluELNS_25InMemoryDataOperationEnumE0ENS_16TensorDescriptorINS5_IJNS_5EmbedINS5_IJiiiiEEESD_Lb0EEENS_11PassThroughIiEENS_3PadIiiiLb0EEESI_SG_SG_NSC_INS5_IJiiEEESJ_Lb0EEESK_SG_NS_23Merge_v2_magic_divisionINS5_IJiiiEEEEESN_NS_8RightPadIiiLb0EEESP_NS_7UnMergeISJ_Lb0EEESG_EEENS5_IJNS_8SequenceIJLi0EEEENST_IJLi1EEEENST_IJLi2EEEENST_IJLi3EEEENST_IJLi4EEEENST_IJLi5EEEENST_IJLi6EEEENST_IJLi7EEEENST_IJLi8EEEENST_IJLi9ELi11ELi13EEEENST_IJLi10ELi12ELi14EEEENST_IJLi15EEEENST_IJLi16EEEENST_IJLi18EEEENST_IJLi17EEEEEEENS5_IJNST_IJLi1ELi2ELi3ELi4EEEESZ_S10_S11_S12_NST_IJLi9EEEENST_IJLi10ELi11EEEENST_IJLi12ELi13EEEENST_IJLi14EEEES15_S16_S18_S17_NST_IJLi19ELi20EEEENST_IJLi21EEEEEEENST_IJLi19ELi21ELi20EEEElEENSB_INS5_IJSR_SP_SP_SR_SG_EEENS5_IJSU_SV_SW_SY_SX_EEENS5_IJNST_IJLi1ELi2EEEESX_SY_NST_IJLi5ELi6EEEES11_EEENST_IJLi5ELi7ELi6EEEElEENSB_INS5_IJSK_SP_SP_EEENS5_IJSU_SV_SW_EEENS5_IJS1M_SX_SY_EEENST_IJLi3ELi4EEEElEELi128ELi128ELi16ELi4ELi4ELi4ELi1ENST_IJLi8ELi2EEEES1W_NST_IJLi8ELi1ELi1ELi4EEEENST_IJLi2ELi1ELi128ELi1EEEENST_IJLi1ELi2ELi0ELi3EEEES1Z_NST_IJLi4ELi1ELi1ELi4EEEES1Z_NST_IJLi1ELi1ELi1ELi4EEEES1X_S1Y_S1Z_S1Z_S20_S1Z_S21_NST_IJLi0ELi1ELi2ELi3ELi4ELi5EEEELi5ELi4EEEaNS5_IJPKaEEEaS8_S8_S9_NSB_INS5_IJSE_SG_SI_SI_SG_SG_SK_SK_SG_SN_SN_SP_SP_SR_SG_SG_NSQ_INS5_IJiNS_17integral_constantIiLi128EEEEEELb0EEENSF_INS27_IiLi4EEEEEEEENS5_IJSU_SV_SW_SX_SY_SZ_S10_S11_S12_S13_S14_S15_S16_S17_S18_NST_IJLi19EEEES1G_NST_IJLi20EEEEEEENS5_IJS1A_SZ_S10_S11_S12_S1B_S1C_S1D_S1E_S15_S16_S18_S17_S1F_S1G_NST_IJLi22EEEENST_IJLi23ELi24EEEENST_IJLi25EEEEEEENST_IJLi22ELi23ELi24ELi25EEEElEENSB_INS5_IJSR_SP_SP_SR_SG_SG_S2A_S2C_EEENS5_IJSU_SV_SW_SY_SX_SZ_S11_S10_EEENS5_IJS1M_SX_SY_S1N_S11_S12_NST_IJLi9ELi10EEEENST_IJLi11EEEEEEENST_IJLi8ELi9ELi10ELi11EEEElEENS5_IJNSB_INS5_IJSK_SP_SP_NSQ_INS5_IJiNS27_IiLi2EEENS27_IiLi64EEEEEELb0EEES2X_EEENS5_IJSU_SV_SW_SX_SY_EEENS5_IJS1M_SX_SY_NST_IJLi5ELi6ELi7EEEENST_IJLi8ELi9ELi10EEEEEEENST_IJLi5ELi6ELi7ELi8ELi9ELi10EEEElEEEEES34_NS_31BlockToCTileMap_M00_N00_M01_N01ILi128ELi128ES1V_Lb0EEENS1_30ComputePtrOffsetOfStridedBatchILi1ELi1ELi1EvEELb0ELb0EEEvPKT0_S3C_T1_PT2_T3_T4_T5_iT6_T7_T8_T9_T10_T11_,"axG",@progbits,_ZN2ck16tensor_operation6device12_GLOBAL__N_137kernel_grouped_conv_fwd_dl_multiple_dINS_32GridwiseGemmDlMultipleD_km_kn_mnILi256EaiNS_5TupleIJaEEEaNS0_12element_wise11PassThroughES8_NS7_7AddReluELNS_25InMemoryDataOperationEnumE0ENS_16TensorDescriptorINS5_IJNS_5EmbedINS5_IJiiiiEEESD_Lb0EEENS_11PassThroughIiEENS_3PadIiiiLb0EEESI_SG_SG_NSC_INS5_IJiiEEESJ_Lb0EEESK_SG_NS_23Merge_v2_magic_divisionINS5_IJiiiEEEEESN_NS_8RightPadIiiLb0EEESP_NS_7UnMergeISJ_Lb0EEESG_EEENS5_IJNS_8SequenceIJLi0EEEENST_IJLi1EEEENST_IJLi2EEEENST_IJLi3EEEENST_IJLi4EEEENST_IJLi5EEEENST_IJLi6EEEENST_IJLi7EEEENST_IJLi8EEEENST_IJLi9ELi11ELi13EEEENST_IJLi10ELi12ELi14EEEENST_IJLi15EEEENST_IJLi16EEEENST_IJLi18EEEENST_IJLi17EEEEEEENS5_IJNST_IJLi1ELi2ELi3ELi4EEEESZ_S10_S11_S12_NST_IJLi9EEEENST_IJLi10ELi11EEEENST_IJLi12ELi13EEEENST_IJLi14EEEES15_S16_S18_S17_NST_IJLi19ELi20EEEENST_IJLi21EEEEEEENST_IJLi19ELi21ELi20EEEElEENSB_INS5_IJSR_SP_SP_SR_SG_EEENS5_IJSU_SV_SW_SY_SX_EEENS5_IJNST_IJLi1ELi2EEEESX_SY_NST_IJLi5ELi6EEEES11_EEENST_IJLi5ELi7ELi6EEEElEENSB_INS5_IJSK_SP_SP_EEENS5_IJSU_SV_SW_EEENS5_IJS1M_SX_SY_EEENST_IJLi3ELi4EEEElEELi128ELi128ELi16ELi4ELi4ELi4ELi1ENST_IJLi8ELi2EEEES1W_NST_IJLi8ELi1ELi1ELi4EEEENST_IJLi2ELi1ELi128ELi1EEEENST_IJLi1ELi2ELi0ELi3EEEES1Z_NST_IJLi4ELi1ELi1ELi4EEEES1Z_NST_IJLi1ELi1ELi1ELi4EEEES1X_S1Y_S1Z_S1Z_S20_S1Z_S21_NST_IJLi0ELi1ELi2ELi3ELi4ELi5EEEELi5ELi4EEEaNS5_IJPKaEEEaS8_S8_S9_NSB_INS5_IJSE_SG_SI_SI_SG_SG_SK_SK_SG_SN_SN_SP_SP_SR_SG_SG_NSQ_INS5_IJiNS_17integral_constantIiLi128EEEEEELb0EEENSF_INS27_IiLi4EEEEEEEENS5_IJSU_SV_SW_SX_SY_SZ_S10_S11_S12_S13_S14_S15_S16_S17_S18_NST_IJLi19EEEES1G_NST_IJLi20EEEEEEENS5_IJS1A_SZ_S10_S11_S12_S1B_S1C_S1D_S1E_S15_S16_S18_S17_S1F_S1G_NST_IJLi22EEEENST_IJLi23ELi24EEEENST_IJLi25EEEEEEENST_IJLi22ELi23ELi24ELi25EEEElEENSB_INS5_IJSR_SP_SP_SR_SG_SG_S2A_S2C_EEENS5_IJSU_SV_SW_SY_SX_SZ_S11_S10_EEENS5_IJS1M_SX_SY_S1N_S11_S12_NST_IJLi9ELi10EEEENST_IJLi11EEEEEEENST_IJLi8ELi9ELi10ELi11EEEElEENS5_IJNSB_INS5_IJSK_SP_SP_NSQ_INS5_IJiNS27_IiLi2EEENS27_IiLi64EEEEEELb0EEES2X_EEENS5_IJSU_SV_SW_SX_SY_EEENS5_IJS1M_SX_SY_NST_IJLi5ELi6ELi7EEEENST_IJLi8ELi9ELi10EEEEEEENST_IJLi5ELi6ELi7ELi8ELi9ELi10EEEElEEEEES34_NS_31BlockToCTileMap_M00_N00_M01_N01ILi128ELi128ES1V_Lb0EEENS1_30ComputePtrOffsetOfStridedBatchILi1ELi1ELi1EvEELb0ELb0EEEvPKT0_S3C_T1_PT2_T3_T4_T5_iT6_T7_T8_T9_T10_T11_,comdat
	.globl	_ZN2ck16tensor_operation6device12_GLOBAL__N_137kernel_grouped_conv_fwd_dl_multiple_dINS_32GridwiseGemmDlMultipleD_km_kn_mnILi256EaiNS_5TupleIJaEEEaNS0_12element_wise11PassThroughES8_NS7_7AddReluELNS_25InMemoryDataOperationEnumE0ENS_16TensorDescriptorINS5_IJNS_5EmbedINS5_IJiiiiEEESD_Lb0EEENS_11PassThroughIiEENS_3PadIiiiLb0EEESI_SG_SG_NSC_INS5_IJiiEEESJ_Lb0EEESK_SG_NS_23Merge_v2_magic_divisionINS5_IJiiiEEEEESN_NS_8RightPadIiiLb0EEESP_NS_7UnMergeISJ_Lb0EEESG_EEENS5_IJNS_8SequenceIJLi0EEEENST_IJLi1EEEENST_IJLi2EEEENST_IJLi3EEEENST_IJLi4EEEENST_IJLi5EEEENST_IJLi6EEEENST_IJLi7EEEENST_IJLi8EEEENST_IJLi9ELi11ELi13EEEENST_IJLi10ELi12ELi14EEEENST_IJLi15EEEENST_IJLi16EEEENST_IJLi18EEEENST_IJLi17EEEEEEENS5_IJNST_IJLi1ELi2ELi3ELi4EEEESZ_S10_S11_S12_NST_IJLi9EEEENST_IJLi10ELi11EEEENST_IJLi12ELi13EEEENST_IJLi14EEEES15_S16_S18_S17_NST_IJLi19ELi20EEEENST_IJLi21EEEEEEENST_IJLi19ELi21ELi20EEEElEENSB_INS5_IJSR_SP_SP_SR_SG_EEENS5_IJSU_SV_SW_SY_SX_EEENS5_IJNST_IJLi1ELi2EEEESX_SY_NST_IJLi5ELi6EEEES11_EEENST_IJLi5ELi7ELi6EEEElEENSB_INS5_IJSK_SP_SP_EEENS5_IJSU_SV_SW_EEENS5_IJS1M_SX_SY_EEENST_IJLi3ELi4EEEElEELi128ELi128ELi16ELi4ELi4ELi4ELi1ENST_IJLi8ELi2EEEES1W_NST_IJLi8ELi1ELi1ELi4EEEENST_IJLi2ELi1ELi128ELi1EEEENST_IJLi1ELi2ELi0ELi3EEEES1Z_NST_IJLi4ELi1ELi1ELi4EEEES1Z_NST_IJLi1ELi1ELi1ELi4EEEES1X_S1Y_S1Z_S1Z_S20_S1Z_S21_NST_IJLi0ELi1ELi2ELi3ELi4ELi5EEEELi5ELi4EEEaNS5_IJPKaEEEaS8_S8_S9_NSB_INS5_IJSE_SG_SI_SI_SG_SG_SK_SK_SG_SN_SN_SP_SP_SR_SG_SG_NSQ_INS5_IJiNS_17integral_constantIiLi128EEEEEELb0EEENSF_INS27_IiLi4EEEEEEEENS5_IJSU_SV_SW_SX_SY_SZ_S10_S11_S12_S13_S14_S15_S16_S17_S18_NST_IJLi19EEEES1G_NST_IJLi20EEEEEEENS5_IJS1A_SZ_S10_S11_S12_S1B_S1C_S1D_S1E_S15_S16_S18_S17_S1F_S1G_NST_IJLi22EEEENST_IJLi23ELi24EEEENST_IJLi25EEEEEEENST_IJLi22ELi23ELi24ELi25EEEElEENSB_INS5_IJSR_SP_SP_SR_SG_SG_S2A_S2C_EEENS5_IJSU_SV_SW_SY_SX_SZ_S11_S10_EEENS5_IJS1M_SX_SY_S1N_S11_S12_NST_IJLi9ELi10EEEENST_IJLi11EEEEEEENST_IJLi8ELi9ELi10ELi11EEEElEENS5_IJNSB_INS5_IJSK_SP_SP_NSQ_INS5_IJiNS27_IiLi2EEENS27_IiLi64EEEEEELb0EEES2X_EEENS5_IJSU_SV_SW_SX_SY_EEENS5_IJS1M_SX_SY_NST_IJLi5ELi6ELi7EEEENST_IJLi8ELi9ELi10EEEEEEENST_IJLi5ELi6ELi7ELi8ELi9ELi10EEEElEEEEES34_NS_31BlockToCTileMap_M00_N00_M01_N01ILi128ELi128ES1V_Lb0EEENS1_30ComputePtrOffsetOfStridedBatchILi1ELi1ELi1EvEELb0ELb0EEEvPKT0_S3C_T1_PT2_T3_T4_T5_iT6_T7_T8_T9_T10_T11_ ; -- Begin function _ZN2ck16tensor_operation6device12_GLOBAL__N_137kernel_grouped_conv_fwd_dl_multiple_dINS_32GridwiseGemmDlMultipleD_km_kn_mnILi256EaiNS_5TupleIJaEEEaNS0_12element_wise11PassThroughES8_NS7_7AddReluELNS_25InMemoryDataOperationEnumE0ENS_16TensorDescriptorINS5_IJNS_5EmbedINS5_IJiiiiEEESD_Lb0EEENS_11PassThroughIiEENS_3PadIiiiLb0EEESI_SG_SG_NSC_INS5_IJiiEEESJ_Lb0EEESK_SG_NS_23Merge_v2_magic_divisionINS5_IJiiiEEEEESN_NS_8RightPadIiiLb0EEESP_NS_7UnMergeISJ_Lb0EEESG_EEENS5_IJNS_8SequenceIJLi0EEEENST_IJLi1EEEENST_IJLi2EEEENST_IJLi3EEEENST_IJLi4EEEENST_IJLi5EEEENST_IJLi6EEEENST_IJLi7EEEENST_IJLi8EEEENST_IJLi9ELi11ELi13EEEENST_IJLi10ELi12ELi14EEEENST_IJLi15EEEENST_IJLi16EEEENST_IJLi18EEEENST_IJLi17EEEEEEENS5_IJNST_IJLi1ELi2ELi3ELi4EEEESZ_S10_S11_S12_NST_IJLi9EEEENST_IJLi10ELi11EEEENST_IJLi12ELi13EEEENST_IJLi14EEEES15_S16_S18_S17_NST_IJLi19ELi20EEEENST_IJLi21EEEEEEENST_IJLi19ELi21ELi20EEEElEENSB_INS5_IJSR_SP_SP_SR_SG_EEENS5_IJSU_SV_SW_SY_SX_EEENS5_IJNST_IJLi1ELi2EEEESX_SY_NST_IJLi5ELi6EEEES11_EEENST_IJLi5ELi7ELi6EEEElEENSB_INS5_IJSK_SP_SP_EEENS5_IJSU_SV_SW_EEENS5_IJS1M_SX_SY_EEENST_IJLi3ELi4EEEElEELi128ELi128ELi16ELi4ELi4ELi4ELi1ENST_IJLi8ELi2EEEES1W_NST_IJLi8ELi1ELi1ELi4EEEENST_IJLi2ELi1ELi128ELi1EEEENST_IJLi1ELi2ELi0ELi3EEEES1Z_NST_IJLi4ELi1ELi1ELi4EEEES1Z_NST_IJLi1ELi1ELi1ELi4EEEES1X_S1Y_S1Z_S1Z_S20_S1Z_S21_NST_IJLi0ELi1ELi2ELi3ELi4ELi5EEEELi5ELi4EEEaNS5_IJPKaEEEaS8_S8_S9_NSB_INS5_IJSE_SG_SI_SI_SG_SG_SK_SK_SG_SN_SN_SP_SP_SR_SG_SG_NSQ_INS5_IJiNS_17integral_constantIiLi128EEEEEELb0EEENSF_INS27_IiLi4EEEEEEEENS5_IJSU_SV_SW_SX_SY_SZ_S10_S11_S12_S13_S14_S15_S16_S17_S18_NST_IJLi19EEEES1G_NST_IJLi20EEEEEEENS5_IJS1A_SZ_S10_S11_S12_S1B_S1C_S1D_S1E_S15_S16_S18_S17_S1F_S1G_NST_IJLi22EEEENST_IJLi23ELi24EEEENST_IJLi25EEEEEEENST_IJLi22ELi23ELi24ELi25EEEElEENSB_INS5_IJSR_SP_SP_SR_SG_SG_S2A_S2C_EEENS5_IJSU_SV_SW_SY_SX_SZ_S11_S10_EEENS5_IJS1M_SX_SY_S1N_S11_S12_NST_IJLi9ELi10EEEENST_IJLi11EEEEEEENST_IJLi8ELi9ELi10ELi11EEEElEENS5_IJNSB_INS5_IJSK_SP_SP_NSQ_INS5_IJiNS27_IiLi2EEENS27_IiLi64EEEEEELb0EEES2X_EEENS5_IJSU_SV_SW_SX_SY_EEENS5_IJS1M_SX_SY_NST_IJLi5ELi6ELi7EEEENST_IJLi8ELi9ELi10EEEEEEENST_IJLi5ELi6ELi7ELi8ELi9ELi10EEEElEEEEES34_NS_31BlockToCTileMap_M00_N00_M01_N01ILi128ELi128ES1V_Lb0EEENS1_30ComputePtrOffsetOfStridedBatchILi1ELi1ELi1EvEELb0ELb0EEEvPKT0_S3C_T1_PT2_T3_T4_T5_iT6_T7_T8_T9_T10_T11_
	.p2align	8
	.type	_ZN2ck16tensor_operation6device12_GLOBAL__N_137kernel_grouped_conv_fwd_dl_multiple_dINS_32GridwiseGemmDlMultipleD_km_kn_mnILi256EaiNS_5TupleIJaEEEaNS0_12element_wise11PassThroughES8_NS7_7AddReluELNS_25InMemoryDataOperationEnumE0ENS_16TensorDescriptorINS5_IJNS_5EmbedINS5_IJiiiiEEESD_Lb0EEENS_11PassThroughIiEENS_3PadIiiiLb0EEESI_SG_SG_NSC_INS5_IJiiEEESJ_Lb0EEESK_SG_NS_23Merge_v2_magic_divisionINS5_IJiiiEEEEESN_NS_8RightPadIiiLb0EEESP_NS_7UnMergeISJ_Lb0EEESG_EEENS5_IJNS_8SequenceIJLi0EEEENST_IJLi1EEEENST_IJLi2EEEENST_IJLi3EEEENST_IJLi4EEEENST_IJLi5EEEENST_IJLi6EEEENST_IJLi7EEEENST_IJLi8EEEENST_IJLi9ELi11ELi13EEEENST_IJLi10ELi12ELi14EEEENST_IJLi15EEEENST_IJLi16EEEENST_IJLi18EEEENST_IJLi17EEEEEEENS5_IJNST_IJLi1ELi2ELi3ELi4EEEESZ_S10_S11_S12_NST_IJLi9EEEENST_IJLi10ELi11EEEENST_IJLi12ELi13EEEENST_IJLi14EEEES15_S16_S18_S17_NST_IJLi19ELi20EEEENST_IJLi21EEEEEEENST_IJLi19ELi21ELi20EEEElEENSB_INS5_IJSR_SP_SP_SR_SG_EEENS5_IJSU_SV_SW_SY_SX_EEENS5_IJNST_IJLi1ELi2EEEESX_SY_NST_IJLi5ELi6EEEES11_EEENST_IJLi5ELi7ELi6EEEElEENSB_INS5_IJSK_SP_SP_EEENS5_IJSU_SV_SW_EEENS5_IJS1M_SX_SY_EEENST_IJLi3ELi4EEEElEELi128ELi128ELi16ELi4ELi4ELi4ELi1ENST_IJLi8ELi2EEEES1W_NST_IJLi8ELi1ELi1ELi4EEEENST_IJLi2ELi1ELi128ELi1EEEENST_IJLi1ELi2ELi0ELi3EEEES1Z_NST_IJLi4ELi1ELi1ELi4EEEES1Z_NST_IJLi1ELi1ELi1ELi4EEEES1X_S1Y_S1Z_S1Z_S20_S1Z_S21_NST_IJLi0ELi1ELi2ELi3ELi4ELi5EEEELi5ELi4EEEaNS5_IJPKaEEEaS8_S8_S9_NSB_INS5_IJSE_SG_SI_SI_SG_SG_SK_SK_SG_SN_SN_SP_SP_SR_SG_SG_NSQ_INS5_IJiNS_17integral_constantIiLi128EEEEEELb0EEENSF_INS27_IiLi4EEEEEEEENS5_IJSU_SV_SW_SX_SY_SZ_S10_S11_S12_S13_S14_S15_S16_S17_S18_NST_IJLi19EEEES1G_NST_IJLi20EEEEEEENS5_IJS1A_SZ_S10_S11_S12_S1B_S1C_S1D_S1E_S15_S16_S18_S17_S1F_S1G_NST_IJLi22EEEENST_IJLi23ELi24EEEENST_IJLi25EEEEEEENST_IJLi22ELi23ELi24ELi25EEEElEENSB_INS5_IJSR_SP_SP_SR_SG_SG_S2A_S2C_EEENS5_IJSU_SV_SW_SY_SX_SZ_S11_S10_EEENS5_IJS1M_SX_SY_S1N_S11_S12_NST_IJLi9ELi10EEEENST_IJLi11EEEEEEENST_IJLi8ELi9ELi10ELi11EEEElEENS5_IJNSB_INS5_IJSK_SP_SP_NSQ_INS5_IJiNS27_IiLi2EEENS27_IiLi64EEEEEELb0EEES2X_EEENS5_IJSU_SV_SW_SX_SY_EEENS5_IJS1M_SX_SY_NST_IJLi5ELi6ELi7EEEENST_IJLi8ELi9ELi10EEEEEEENST_IJLi5ELi6ELi7ELi8ELi9ELi10EEEElEEEEES34_NS_31BlockToCTileMap_M00_N00_M01_N01ILi128ELi128ES1V_Lb0EEENS1_30ComputePtrOffsetOfStridedBatchILi1ELi1ELi1EvEELb0ELb0EEEvPKT0_S3C_T1_PT2_T3_T4_T5_iT6_T7_T8_T9_T10_T11_,@function
_ZN2ck16tensor_operation6device12_GLOBAL__N_137kernel_grouped_conv_fwd_dl_multiple_dINS_32GridwiseGemmDlMultipleD_km_kn_mnILi256EaiNS_5TupleIJaEEEaNS0_12element_wise11PassThroughES8_NS7_7AddReluELNS_25InMemoryDataOperationEnumE0ENS_16TensorDescriptorINS5_IJNS_5EmbedINS5_IJiiiiEEESD_Lb0EEENS_11PassThroughIiEENS_3PadIiiiLb0EEESI_SG_SG_NSC_INS5_IJiiEEESJ_Lb0EEESK_SG_NS_23Merge_v2_magic_divisionINS5_IJiiiEEEEESN_NS_8RightPadIiiLb0EEESP_NS_7UnMergeISJ_Lb0EEESG_EEENS5_IJNS_8SequenceIJLi0EEEENST_IJLi1EEEENST_IJLi2EEEENST_IJLi3EEEENST_IJLi4EEEENST_IJLi5EEEENST_IJLi6EEEENST_IJLi7EEEENST_IJLi8EEEENST_IJLi9ELi11ELi13EEEENST_IJLi10ELi12ELi14EEEENST_IJLi15EEEENST_IJLi16EEEENST_IJLi18EEEENST_IJLi17EEEEEEENS5_IJNST_IJLi1ELi2ELi3ELi4EEEESZ_S10_S11_S12_NST_IJLi9EEEENST_IJLi10ELi11EEEENST_IJLi12ELi13EEEENST_IJLi14EEEES15_S16_S18_S17_NST_IJLi19ELi20EEEENST_IJLi21EEEEEEENST_IJLi19ELi21ELi20EEEElEENSB_INS5_IJSR_SP_SP_SR_SG_EEENS5_IJSU_SV_SW_SY_SX_EEENS5_IJNST_IJLi1ELi2EEEESX_SY_NST_IJLi5ELi6EEEES11_EEENST_IJLi5ELi7ELi6EEEElEENSB_INS5_IJSK_SP_SP_EEENS5_IJSU_SV_SW_EEENS5_IJS1M_SX_SY_EEENST_IJLi3ELi4EEEElEELi128ELi128ELi16ELi4ELi4ELi4ELi1ENST_IJLi8ELi2EEEES1W_NST_IJLi8ELi1ELi1ELi4EEEENST_IJLi2ELi1ELi128ELi1EEEENST_IJLi1ELi2ELi0ELi3EEEES1Z_NST_IJLi4ELi1ELi1ELi4EEEES1Z_NST_IJLi1ELi1ELi1ELi4EEEES1X_S1Y_S1Z_S1Z_S20_S1Z_S21_NST_IJLi0ELi1ELi2ELi3ELi4ELi5EEEELi5ELi4EEEaNS5_IJPKaEEEaS8_S8_S9_NSB_INS5_IJSE_SG_SI_SI_SG_SG_SK_SK_SG_SN_SN_SP_SP_SR_SG_SG_NSQ_INS5_IJiNS_17integral_constantIiLi128EEEEEELb0EEENSF_INS27_IiLi4EEEEEEEENS5_IJSU_SV_SW_SX_SY_SZ_S10_S11_S12_S13_S14_S15_S16_S17_S18_NST_IJLi19EEEES1G_NST_IJLi20EEEEEEENS5_IJS1A_SZ_S10_S11_S12_S1B_S1C_S1D_S1E_S15_S16_S18_S17_S1F_S1G_NST_IJLi22EEEENST_IJLi23ELi24EEEENST_IJLi25EEEEEEENST_IJLi22ELi23ELi24ELi25EEEElEENSB_INS5_IJSR_SP_SP_SR_SG_SG_S2A_S2C_EEENS5_IJSU_SV_SW_SY_SX_SZ_S11_S10_EEENS5_IJS1M_SX_SY_S1N_S11_S12_NST_IJLi9ELi10EEEENST_IJLi11EEEEEEENST_IJLi8ELi9ELi10ELi11EEEElEENS5_IJNSB_INS5_IJSK_SP_SP_NSQ_INS5_IJiNS27_IiLi2EEENS27_IiLi64EEEEEELb0EEES2X_EEENS5_IJSU_SV_SW_SX_SY_EEENS5_IJS1M_SX_SY_NST_IJLi5ELi6ELi7EEEENST_IJLi8ELi9ELi10EEEEEEENST_IJLi5ELi6ELi7ELi8ELi9ELi10EEEElEEEEES34_NS_31BlockToCTileMap_M00_N00_M01_N01ILi128ELi128ES1V_Lb0EEENS1_30ComputePtrOffsetOfStridedBatchILi1ELi1ELi1EvEELb0ELb0EEEvPKT0_S3C_T1_PT2_T3_T4_T5_iT6_T7_T8_T9_T10_T11_: ; @_ZN2ck16tensor_operation6device12_GLOBAL__N_137kernel_grouped_conv_fwd_dl_multiple_dINS_32GridwiseGemmDlMultipleD_km_kn_mnILi256EaiNS_5TupleIJaEEEaNS0_12element_wise11PassThroughES8_NS7_7AddReluELNS_25InMemoryDataOperationEnumE0ENS_16TensorDescriptorINS5_IJNS_5EmbedINS5_IJiiiiEEESD_Lb0EEENS_11PassThroughIiEENS_3PadIiiiLb0EEESI_SG_SG_NSC_INS5_IJiiEEESJ_Lb0EEESK_SG_NS_23Merge_v2_magic_divisionINS5_IJiiiEEEEESN_NS_8RightPadIiiLb0EEESP_NS_7UnMergeISJ_Lb0EEESG_EEENS5_IJNS_8SequenceIJLi0EEEENST_IJLi1EEEENST_IJLi2EEEENST_IJLi3EEEENST_IJLi4EEEENST_IJLi5EEEENST_IJLi6EEEENST_IJLi7EEEENST_IJLi8EEEENST_IJLi9ELi11ELi13EEEENST_IJLi10ELi12ELi14EEEENST_IJLi15EEEENST_IJLi16EEEENST_IJLi18EEEENST_IJLi17EEEEEEENS5_IJNST_IJLi1ELi2ELi3ELi4EEEESZ_S10_S11_S12_NST_IJLi9EEEENST_IJLi10ELi11EEEENST_IJLi12ELi13EEEENST_IJLi14EEEES15_S16_S18_S17_NST_IJLi19ELi20EEEENST_IJLi21EEEEEEENST_IJLi19ELi21ELi20EEEElEENSB_INS5_IJSR_SP_SP_SR_SG_EEENS5_IJSU_SV_SW_SY_SX_EEENS5_IJNST_IJLi1ELi2EEEESX_SY_NST_IJLi5ELi6EEEES11_EEENST_IJLi5ELi7ELi6EEEElEENSB_INS5_IJSK_SP_SP_EEENS5_IJSU_SV_SW_EEENS5_IJS1M_SX_SY_EEENST_IJLi3ELi4EEEElEELi128ELi128ELi16ELi4ELi4ELi4ELi1ENST_IJLi8ELi2EEEES1W_NST_IJLi8ELi1ELi1ELi4EEEENST_IJLi2ELi1ELi128ELi1EEEENST_IJLi1ELi2ELi0ELi3EEEES1Z_NST_IJLi4ELi1ELi1ELi4EEEES1Z_NST_IJLi1ELi1ELi1ELi4EEEES1X_S1Y_S1Z_S1Z_S20_S1Z_S21_NST_IJLi0ELi1ELi2ELi3ELi4ELi5EEEELi5ELi4EEEaNS5_IJPKaEEEaS8_S8_S9_NSB_INS5_IJSE_SG_SI_SI_SG_SG_SK_SK_SG_SN_SN_SP_SP_SR_SG_SG_NSQ_INS5_IJiNS_17integral_constantIiLi128EEEEEELb0EEENSF_INS27_IiLi4EEEEEEEENS5_IJSU_SV_SW_SX_SY_SZ_S10_S11_S12_S13_S14_S15_S16_S17_S18_NST_IJLi19EEEES1G_NST_IJLi20EEEEEEENS5_IJS1A_SZ_S10_S11_S12_S1B_S1C_S1D_S1E_S15_S16_S18_S17_S1F_S1G_NST_IJLi22EEEENST_IJLi23ELi24EEEENST_IJLi25EEEEEEENST_IJLi22ELi23ELi24ELi25EEEElEENSB_INS5_IJSR_SP_SP_SR_SG_SG_S2A_S2C_EEENS5_IJSU_SV_SW_SY_SX_SZ_S11_S10_EEENS5_IJS1M_SX_SY_S1N_S11_S12_NST_IJLi9ELi10EEEENST_IJLi11EEEEEEENST_IJLi8ELi9ELi10ELi11EEEElEENS5_IJNSB_INS5_IJSK_SP_SP_NSQ_INS5_IJiNS27_IiLi2EEENS27_IiLi64EEEEEELb0EEES2X_EEENS5_IJSU_SV_SW_SX_SY_EEENS5_IJS1M_SX_SY_NST_IJLi5ELi6ELi7EEEENST_IJLi8ELi9ELi10EEEEEEENST_IJLi5ELi6ELi7ELi8ELi9ELi10EEEElEEEEES34_NS_31BlockToCTileMap_M00_N00_M01_N01ILi128ELi128ES1V_Lb0EEENS1_30ComputePtrOffsetOfStridedBatchILi1ELi1ELi1EvEELb0ELb0EEEvPKT0_S3C_T1_PT2_T3_T4_T5_iT6_T7_T8_T9_T10_T11_
; %bb.0:
	s_clause 0x1
	s_load_b32 s2, s[0:1], 0x24
	s_load_b128 s[24:27], s[0:1], 0x38
	v_lshrrev_b32_e32 v27, 1, v0
	s_mov_b32 s23, 0x31004000
	s_delay_alu instid0(SALU_CYCLE_1) | instskip(SKIP_2) | instid1(SALU_CYCLE_1)
	s_mov_b32 s31, s23
	s_wait_kmcnt 0x0
	s_abs_i32 s3, s2
	s_cvt_f32_u32 s4, s3
	s_sub_co_i32 s6, 0, s3
	s_delay_alu instid0(SALU_CYCLE_2) | instskip(SKIP_1) | instid1(TRANS32_DEP_1)
	v_rcp_iflag_f32_e32 v1, s4
	s_load_b32 s4, s[0:1], 0x2c8
	v_readfirstlane_b32 s5, v1
	s_mul_f32 s5, s5, 0x4f7ffffe
	s_wait_alu 0xfffe
	s_delay_alu instid0(SALU_CYCLE_2)
	s_cvt_u32_f32 s5, s5
	s_wait_kmcnt 0x0
	s_abs_i32 s7, s4
	s_xor_b32 s2, s4, s2
	s_wait_alu 0xfffe
	s_mul_i32 s6, s6, s5
	s_ashr_i32 s2, s2, 31
	s_mul_hi_u32 s6, s5, s6
	s_delay_alu instid0(SALU_CYCLE_1)
	s_add_co_i32 s5, s5, s6
	s_wait_alu 0xfffe
	s_mul_hi_u32 s5, s7, s5
	s_wait_alu 0xfffe
	s_mul_i32 s4, s5, s3
	s_add_co_i32 s6, s5, 1
	s_wait_alu 0xfffe
	s_sub_co_i32 s4, s7, s4
	s_wait_alu 0xfffe
	s_sub_co_i32 s7, s4, s3
	s_cmp_ge_u32 s4, s3
	s_cselect_b32 s5, s6, s5
	s_cselect_b32 s4, s7, s4
	s_wait_alu 0xfffe
	s_add_co_i32 s6, s5, 1
	s_cmp_ge_u32 s4, s3
	s_cselect_b32 s3, s6, s5
	s_abs_i32 s19, ttmp9
	s_xor_b32 s3, s3, s2
	s_delay_alu instid0(SALU_CYCLE_1) | instskip(NEXT) | instid1(SALU_CYCLE_1)
	s_sub_co_i32 s8, s3, s2
	s_abs_i32 s9, s8
	s_xor_b32 s8, ttmp9, s8
	s_cvt_f32_u32 s2, s9
	s_sub_co_i32 s12, 0, s9
	s_ashr_i32 s60, s8, 31
	s_delay_alu instid0(SALU_CYCLE_1)
	v_rcp_iflag_f32_e32 v1, s2
	s_clause 0x13
	s_load_b64 s[16:17], s[0:1], 0xc8
	s_load_b64 s[2:3], s[0:1], 0xd4
	s_load_b32 s43, s[0:1], 0xe4
	s_load_b32 s48, s[0:1], 0xf0
	;; [unrolled: 1-line block ×9, first 2 shown]
	s_load_b64 s[34:35], s[0:1], 0x198
	s_load_b32 s63, s[0:1], 0x254
	s_load_b128 s[36:39], s[0:1], 0x260
	s_load_b64 s[20:21], s[0:1], 0x94
	s_load_b64 s[28:29], s[0:1], 0xa0
	;; [unrolled: 1-line block ×4, first 2 shown]
	s_load_b32 s66, s[0:1], 0x50
	s_load_b96 s[40:42], s[0:1], 0x4c
	s_wait_kmcnt 0x0
	s_clause 0x3
	s_load_b32 s41, s[0:1], 0x5c
	s_load_b64 s[54:55], s[0:1], 0x74
	s_load_b64 s[56:57], s[0:1], 0x84
	s_load_b96 s[44:46], s[0:1], 0x58
	v_readfirstlane_b32 s4, v1
	v_lshlrev_b32_e32 v1, 3, v0
	s_mul_f32 s4, s4, 0x4f7ffffe
	s_delay_alu instid0(VALU_DEP_1) | instskip(SKIP_1) | instid1(SALU_CYCLE_1)
	v_and_b32_e32 v24, 8, v1
	s_wait_alu 0xfffe
	s_cvt_u32_f32 s11, s4
	s_load_b128 s[4:7], s[0:1], 0x274
	s_delay_alu instid0(VALU_DEP_1)
	v_mul_lo_u32 v25, s10, v24
	v_or_b32_e32 v1, 4, v24
	s_mul_i32 s18, s12, s11
	s_load_b128 s[12:15], s[0:1], 0x288
	s_mul_hi_u32 s18, s11, s18
	v_mul_lo_u32 v20, s59, v24
	s_add_co_i32 s11, s11, s18
	v_mul_lo_u32 v26, s10, v1
	s_wait_alu 0xfffe
	s_mul_hi_u32 s11, s19, s11
	v_mul_hi_u32 v1, v25, s17
	s_wait_alu 0xfffe
	s_mul_i32 s18, s11, s9
	v_cmp_gt_i32_e32 vcc_lo, s48, v25
	s_sub_co_i32 s8, s19, s18
	s_add_co_i32 s18, s11, 1
	s_sub_co_i32 s19, s8, s9
	s_cmp_ge_u32 s8, s9
	v_mul_hi_u32 v2, v26, s17
	s_cselect_b32 s11, s18, s11
	s_cselect_b32 s8, s19, s8
	s_wait_alu 0xfffe
	s_add_co_i32 s18, s11, 1
	s_cmp_ge_u32 s8, s9
	s_wait_kmcnt 0x0
	s_mul_hi_u32 s7, s7, ttmp9
	s_cselect_b32 s61, s18, s11
	s_add_co_i32 s7, ttmp9, s7
	v_add_nc_u32_e32 v1, v25, v1
	s_lshr_b32 s62, s7, s15
	s_load_b32 s15, s[0:1], 0x244
	s_mul_hi_u32 s6, s62, s6
	s_delay_alu instid0(SALU_CYCLE_1)
	s_add_co_i32 s6, s62, s6
	v_lshrrev_b32_e32 v3, s3, v1
	s_lshr_b32 s64, s6, s14
	v_add_nc_u32_e32 v1, v26, v2
	s_mul_hi_u32 s5, s64, s5
	s_wait_alu 0xfffe
	s_add_co_i32 s5, s64, s5
	v_mul_hi_u32 v2, v3, s16
	s_wait_alu 0xfffe
	s_lshr_b32 s65, s5, s13
	v_lshrrev_b32_e32 v6, s3, v1
	s_mul_hi_u32 s13, s65, s4
	s_load_b256 s[4:11], s[0:1], 0x0
	s_add_co_i32 s13, s65, s13
	s_delay_alu instid0(SALU_CYCLE_1)
	s_lshr_b32 s12, s13, s12
	s_mul_i32 s13, s64, s38
	s_mul_i32 s12, s12, s36
	s_sub_co_i32 s13, s62, s13
	s_sub_co_i32 s12, s65, s12
	v_add_nc_u32_e32 v1, v3, v2
	s_wait_kmcnt 0x0
	s_mul_i32 s12, s12, s15
	v_mul_lo_u32 v2, v3, s53
	s_add_co_i32 s13, s13, s12
	v_mul_hi_u32 v4, v6, s16
	s_lshl_b32 s33, s13, 7
	v_lshrrev_b32_e32 v7, s2, v1
	v_or_b32_e32 v28, s33, v27
	s_mul_i32 s65, s65, s37
	s_mul_i32 s62, s62, s39
	v_sub_nc_u32_e32 v1, v25, v2
	v_mul_lo_u32 v8, v7, s52
	v_mul_hi_u32 v5, v28, s29
	v_add_nc_u32_e32 v4, v6, v4
	s_sub_co_i32 s3, s64, s65
	s_load_b256 s[12:19], s[0:1], 0x2a0
	s_mul_i32 s3, s3, s63
	s_delay_alu instid0(VALU_DEP_1) | instskip(NEXT) | instid1(VALU_DEP_4)
	v_lshrrev_b32_e32 v9, s2, v4
	v_sub_nc_u32_e32 v2, v3, v8
	s_delay_alu instid0(VALU_DEP_4) | instskip(SKIP_1) | instid1(VALU_DEP_3)
	v_add_nc_u32_e32 v5, v28, v5
	s_xor_b32 s2, s61, s60
	v_sub_nc_u32_e32 v8, v9, v7
	s_delay_alu instid0(VALU_DEP_3) | instskip(NEXT) | instid1(VALU_DEP_3)
	v_mad_co_u64_u32 v[3:4], null, v6, s53, v[1:2]
	v_lshrrev_b32_e32 v10, s51, v5
	s_wait_alu 0xfffe
	s_sub_co_i32 s38, s2, s60
	v_mul_lo_u32 v29, v8, s54
	v_mul_lo_u32 v1, v1, s27
	s_ashr_i32 s39, s38, 31
	v_mul_hi_u32 v11, v10, s28
	v_mad_co_u64_u32 v[4:5], null, v9, s52, v[2:3]
	v_mul_lo_u32 v5, v7, s54
	v_sub_nc_u32_e32 v7, v26, v3
	s_sub_co_i32 s28, ttmp9, s62
	v_mul_lo_u32 v2, v2, s56
	s_wait_alu 0xfffe
	s_add_co_i32 s28, s28, s3
	v_add_nc_u32_e32 v3, v10, v11
	v_sub_nc_u32_e32 v6, v6, v4
	s_wait_alu 0xfffe
	s_lshl_b32 s36, s28, 7
	s_wait_kmcnt 0x0
	s_mul_u64 s[2:3], s[14:15], s[38:39]
	v_or_b32_e32 v30, s36, v27
	v_lshrrev_b32_e32 v8, s50, v3
	v_mul_lo_u32 v3, v10, s21
	s_wait_alu 0xfffe
	s_add_nc_u64 s[28:29], s[6:7], s[2:3]
	s_lshl_b32 s6, s59, 2
	s_wait_alu 0xfffe
	s_and_b32 s29, s29, 0xffff
	v_mul_lo_u32 v4, v8, s20
	v_mul_lo_u32 v14, v8, s24
	s_mul_u64 s[2:3], s[12:13], s[38:39]
	s_sub_co_i32 s15, s44, s46
	v_sub_nc_u32_e32 v9, v28, v3
	s_wait_alu 0xfffe
	s_add_nc_u64 s[20:21], s[4:5], s[2:3]
	v_add_nc_u32_e32 v25, s6, v20
	s_wait_alu 0xfffe
	s_and_b32 s21, s21, 0xffff
	v_sub_nc_u32_e32 v10, v10, v4
	v_mad_co_u64_u32 v[3:4], null, v30, s58, v[20:21]
	s_mul_u64 s[4:5], s[16:17], s[38:39]
	v_lshlrev_b32_e32 v27, 2, v27
	s_wait_alu 0xfffe
	s_add_nc_u64 s[12:13], s[8:9], s[4:5]
	v_cmp_gt_i32_e64 s4, s47, v30
	v_cmp_gt_i32_e64 s2, s49, v25
	;; [unrolled: 1-line block ×3, first 2 shown]
	v_mad_co_u64_u32 v[21:22], null, v9, s57, v[2:3]
	v_mad_co_u64_u32 v[22:23], null, v10, s55, v[5:6]
	v_mul_lo_u32 v2, v7, s27
	v_mul_lo_u32 v23, v6, s56
	buffer_load_b128 v[4:7], v3, s[28:31], null offen
	v_add_nc_u32_e32 v3, s6, v3
	v_subrev_nc_u32_e32 v9, s41, v21
	v_cmp_gt_i32_e64 s3, s15, v21
	v_subrev_nc_u32_e32 v10, s66, v22
	s_mul_u64 s[6:7], s[18:19], s[38:39]
	s_and_b32 s13, s13, 0xffff
	v_mad_co_u64_u32 v[12:13], null, v9, s26, v[1:2]
	s_delay_alu instid0(VALU_DEP_2)
	v_mul_lo_u32 v13, v10, s25
	v_mad_co_u64_u32 v[1:2], null, v29, s25, v[2:3]
	v_mul_lo_u32 v2, v23, s26
	buffer_load_b128 v[8:11], v3, s[28:31], null offen
	s_and_b32 s9, s3, vcc_lo
	s_sub_co_i32 s30, s40, s42
	v_add3_u32 v3, v12, v14, v13
	v_cmp_gt_i32_e64 s8, s30, v22
	s_delay_alu instid0(VALU_DEP_2)
	v_add3_u32 v1, v1, v2, v3
	s_clause 0x1
	buffer_load_b128 v[12:15], v3, s[20:23], null offen
	buffer_load_b128 v[16:19], v1, s[20:23], null offen
	s_clause 0x6
	s_load_b32 s28, s[0:1], 0x1a4
	s_load_b32 s29, s[0:1], 0x1b0
	;; [unrolled: 1-line block ×3, first 2 shown]
	s_load_b64 s[24:25], s[0:1], 0x1e8
	s_load_b32 s26, s[0:1], 0x1f4
	s_load_b32 s27, s[0:1], 0x200
	;; [unrolled: 1-line block ×3, first 2 shown]
	v_cmp_gt_i32_e64 s1, s49, v20
	v_add_nc_u32_e32 v20, v21, v23
	v_cmp_gt_i32_e64 s0, s48, v26
	s_add_nc_u64 s[20:21], s[10:11], s[6:7]
	v_cmp_le_i32_e64 s6, s41, v21
	v_add_nc_u32_e32 v21, v22, v29
	v_cmp_gt_i32_e64 s3, s15, v20
	v_cmp_le_i32_e32 vcc_lo, s41, v20
	v_cmp_le_i32_e64 s7, s66, v22
	s_and_b32 s10, s9, s6
	v_cmp_le_i32_e64 s6, s66, v21
	s_and_b32 s0, s3, s0
	v_cmp_gt_i32_e64 s9, s30, v21
	s_and_b32 s0, s0, vcc_lo
	s_and_b32 vcc_lo, s1, s4
	s_and_b32 s3, s7, s8
	v_lshrrev_b32_e32 v1, 5, v0
	s_wait_alu 0xfffe
	s_and_b32 s3, s10, s3
	s_and_b32 s6, s6, s9
	s_mov_b32 s15, s23
	s_wait_alu 0xfffe
	s_and_b32 s0, s0, s6
	s_and_b32 s21, s21, 0xffff
	s_wait_loadcnt 0x3
	v_cndmask_b32_e32 v7, 0, v7, vcc_lo
	v_lshl_or_b32 v24, v24, 9, v27
	v_dual_cndmask_b32 v6, 0, v6 :: v_dual_cndmask_b32 v5, 0, v5
	v_cndmask_b32_e32 v4, 0, v4, vcc_lo
	s_and_b32 vcc_lo, s2, s4
	v_lshlrev_b32_e32 v2, 1, v0
	v_lshlrev_b32_e32 v0, 2, v0
	ds_store_2addr_stride64_b32 v24, v4, v5 offset0:64 offset1:66
	ds_store_2addr_stride64_b32 v24, v6, v7 offset0:68 offset1:70
	s_lshl_b32 s2, s35, 7
	s_wait_loadcnt 0x2
	s_wait_alu 0xfffe
	v_dual_cndmask_b32 v9, 0, v9 :: v_dual_cndmask_b32 v8, 0, v8
	v_dual_cndmask_b32 v11, 0, v11 :: v_dual_cndmask_b32 v4, 0, v10
	s_and_b32 vcc_lo, s5, s3
	v_and_b32_e32 v31, 0x1f8, v2
	ds_store_2addr_stride64_b32 v24, v8, v9 offset0:72 offset1:74
	s_wait_kmcnt 0x0
	s_lshl_b32 s3, s25, 6
	s_wait_loadcnt 0x1
	s_wait_alu 0xfffe
	v_dual_cndmask_b32 v5, 0, v15 :: v_dual_cndmask_b32 v6, 0, v14
	v_dual_cndmask_b32 v7, 0, v13 :: v_dual_cndmask_b32 v8, 0, v12
	s_and_b32 vcc_lo, s5, s0
	s_wait_loadcnt 0x0
	s_wait_alu 0xfffe
	v_dual_cndmask_b32 v12, 0, v16 :: v_dual_lshlrev_b32 v3, 6, v1
	v_lshlrev_b32_e32 v1, 3, v1
	v_dual_cndmask_b32 v10, 0, v17 :: v_dual_cndmask_b32 v13, 0, v18
	s_delay_alu instid0(VALU_DEP_3) | instskip(SKIP_1) | instid1(VALU_DEP_3)
	v_sub_nc_u32_e32 v31, v31, v3
	s_lshl_b32 s0, s35, 6
	v_and_or_b32 v3, v2, 4, v1
	v_cndmask_b32_e32 v9, 0, v19, vcc_lo
	s_add_co_i32 s1, s0, s34
	v_and_or_b32 v2, v0, 4, v31
	s_sub_co_i32 s1, s1, s2
	v_lshlrev_b32_e32 v0, 2, v3
	v_or_b32_e32 v3, s33, v3
	s_mul_i32 s2, s34, 60
	v_lshlrev_b32_e32 v1, 2, v2
	v_add_nc_u32_e32 v2, s36, v2
	ds_store_2addr_stride64_b32 v24, v4, v11 offset0:76 offset1:78
	ds_store_2addr_stride64_b32 v24, v8, v7 offset1:2
	ds_store_2addr_stride64_b32 v24, v6, v5 offset0:4 offset1:6
	ds_store_2addr_stride64_b32 v24, v12, v10 offset0:8 offset1:10
	;; [unrolled: 1-line block ×3, first 2 shown]
	s_wait_dscnt 0x0
	s_barrier_signal -1
	s_barrier_wait -1
	global_inv scope:SCOPE_SE
	ds_load_b128 v[4:7], v1 offset:16384
	ds_load_b128 v[8:11], v1 offset:16640
	ds_load_b128 v[12:15], v0
	ds_load_b128 v[16:19], v0 offset:256
	ds_load_b128 v[20:23], v1 offset:16896
	;; [unrolled: 1-line block ×19, first 2 shown]
	s_wait_dscnt 0x13
	v_dot4_i32_iu8 v92, v12, v4, 0 neg_lo:[1,1,0]
	v_dot4_i32_iu8 v93, v12, v5, 0 neg_lo:[1,1,0]
	v_dot4_i32_iu8 v94, v12, v6, 0 neg_lo:[1,1,0]
	v_dot4_i32_iu8 v95, v12, v7, 0 neg_lo:[1,1,0]
	v_dot4_i32_iu8 v96, v13, v4, 0 neg_lo:[1,1,0]
	v_dot4_i32_iu8 v97, v13, v5, 0 neg_lo:[1,1,0]
	v_dot4_i32_iu8 v98, v13, v6, 0 neg_lo:[1,1,0]
	v_dot4_i32_iu8 v99, v13, v7, 0 neg_lo:[1,1,0]
	v_dot4_i32_iu8 v100, v14, v4, 0 neg_lo:[1,1,0]
	v_dot4_i32_iu8 v101, v14, v5, 0 neg_lo:[1,1,0]
	v_dot4_i32_iu8 v102, v14, v6, 0 neg_lo:[1,1,0]
	v_dot4_i32_iu8 v103, v14, v7, 0 neg_lo:[1,1,0]
	v_dot4_i32_iu8 v104, v15, v4, 0 neg_lo:[1,1,0]
	v_dot4_i32_iu8 v105, v15, v5, 0 neg_lo:[1,1,0]
	v_dot4_i32_iu8 v106, v15, v6, 0 neg_lo:[1,1,0]
	v_dot4_i32_iu8 v107, v15, v7, 0 neg_lo:[1,1,0]
	v_dot4_i32_iu8 v108, v12, v8, 0 neg_lo:[1,1,0]
	v_dot4_i32_iu8 v109, v12, v9, 0 neg_lo:[1,1,0]
	v_dot4_i32_iu8 v110, v12, v10, 0 neg_lo:[1,1,0]
	v_dot4_i32_iu8 v12, v12, v11, 0 neg_lo:[1,1,0]
	v_dot4_i32_iu8 v111, v13, v8, 0 neg_lo:[1,1,0]
	v_dot4_i32_iu8 v112, v13, v9, 0 neg_lo:[1,1,0]
	v_dot4_i32_iu8 v113, v13, v10, 0 neg_lo:[1,1,0]
	v_dot4_i32_iu8 v13, v13, v11, 0 neg_lo:[1,1,0]
	v_dot4_i32_iu8 v114, v14, v8, 0 neg_lo:[1,1,0]
	v_dot4_i32_iu8 v115, v14, v9, 0 neg_lo:[1,1,0]
	v_dot4_i32_iu8 v116, v14, v10, 0 neg_lo:[1,1,0]
	v_dot4_i32_iu8 v14, v14, v11, 0 neg_lo:[1,1,0]
	v_dot4_i32_iu8 v117, v15, v8, 0 neg_lo:[1,1,0]
	v_dot4_i32_iu8 v118, v15, v9, 0 neg_lo:[1,1,0]
	v_dot4_i32_iu8 v119, v15, v10, 0 neg_lo:[1,1,0]
	v_dot4_i32_iu8 v15, v15, v11, 0 neg_lo:[1,1,0]
	s_wait_dscnt 0x12
	v_dot4_i32_iu8 v120, v16, v4, 0 neg_lo:[1,1,0]
	v_dot4_i32_iu8 v121, v16, v5, 0 neg_lo:[1,1,0]
	v_dot4_i32_iu8 v122, v16, v6, 0 neg_lo:[1,1,0]
	v_dot4_i32_iu8 v123, v16, v7, 0 neg_lo:[1,1,0]
	v_dot4_i32_iu8 v124, v17, v4, 0 neg_lo:[1,1,0]
	v_dot4_i32_iu8 v125, v17, v5, 0 neg_lo:[1,1,0]
	v_dot4_i32_iu8 v126, v17, v6, 0 neg_lo:[1,1,0]
	v_dot4_i32_iu8 v127, v17, v7, 0 neg_lo:[1,1,0]
	v_dot4_i32_iu8 v128, v18, v4, 0 neg_lo:[1,1,0]
	v_dot4_i32_iu8 v129, v18, v5, 0 neg_lo:[1,1,0]
	v_dot4_i32_iu8 v130, v18, v6, 0 neg_lo:[1,1,0]
	v_dot4_i32_iu8 v131, v18, v7, 0 neg_lo:[1,1,0]
	v_dot4_i32_iu8 v4, v19, v4, 0 neg_lo:[1,1,0]
	v_dot4_i32_iu8 v5, v19, v5, 0 neg_lo:[1,1,0]
	v_dot4_i32_iu8 v6, v19, v6, 0 neg_lo:[1,1,0]
	v_dot4_i32_iu8 v7, v19, v7, 0 neg_lo:[1,1,0]
	v_dot4_i32_iu8 v132, v16, v8, 0 neg_lo:[1,1,0]
	v_dot4_i32_iu8 v133, v16, v9, 0 neg_lo:[1,1,0]
	v_dot4_i32_iu8 v134, v16, v10, 0 neg_lo:[1,1,0]
	v_dot4_i32_iu8 v16, v16, v11, 0 neg_lo:[1,1,0]
	v_dot4_i32_iu8 v135, v17, v8, 0 neg_lo:[1,1,0]
	v_dot4_i32_iu8 v136, v17, v9, 0 neg_lo:[1,1,0]
	v_dot4_i32_iu8 v137, v17, v10, 0 neg_lo:[1,1,0]
	v_dot4_i32_iu8 v17, v17, v11, 0 neg_lo:[1,1,0]
	v_dot4_i32_iu8 v138, v18, v8, 0 neg_lo:[1,1,0]
	v_dot4_i32_iu8 v139, v18, v9, 0 neg_lo:[1,1,0]
	v_dot4_i32_iu8 v140, v18, v10, 0 neg_lo:[1,1,0]
	v_dot4_i32_iu8 v18, v18, v11, 0 neg_lo:[1,1,0]
	v_dot4_i32_iu8 v8, v19, v8, 0 neg_lo:[1,1,0]
	v_dot4_i32_iu8 v9, v19, v9, 0 neg_lo:[1,1,0]
	v_dot4_i32_iu8 v10, v19, v10, 0 neg_lo:[1,1,0]
	v_dot4_i32_iu8 v11, v19, v11, 0 neg_lo:[1,1,0]
	;; [unrolled: 33-line block ×9, first 2 shown]
	s_wait_dscnt 0x2
	v_dot4_i32_iu8 v31, v80, v68, v31 neg_lo:[1,1,0]
	v_dot4_i32_iu8 v47, v80, v69, v47 neg_lo:[1,1,0]
	;; [unrolled: 1-line block ×30, first 2 shown]
	ds_load_b128 v[4:7], v1 offset:19200
	v_dot4_i32_iu8 v74, v83, v74, v10 neg_lo:[1,1,0]
	v_dot4_i32_iu8 v75, v83, v75, v11 neg_lo:[1,1,0]
	ds_load_b128 v[8:11], v0 offset:2816
	s_wait_dscnt 0x2
	v_dot4_i32_iu8 v79, v84, v88, v19 neg_lo:[1,1,0]
	v_dot4_i32_iu8 v24, v84, v89, v24 neg_lo:[1,1,0]
	v_dot4_i32_iu8 v25, v84, v90, v25 neg_lo:[1,1,0]
	v_dot4_i32_iu8 v26, v84, v91, v26 neg_lo:[1,1,0]
	v_dot4_i32_iu8 v27, v85, v88, v27 neg_lo:[1,1,0]
	v_dot4_i32_iu8 v34, v85, v89, v34 neg_lo:[1,1,0]
	v_dot4_i32_iu8 v35, v85, v90, v35 neg_lo:[1,1,0]
	v_dot4_i32_iu8 v39, v85, v91, v39 neg_lo:[1,1,0]
	v_dot4_i32_iu8 v40, v86, v88, v40 neg_lo:[1,1,0]
	v_dot4_i32_iu8 v41, v86, v89, v41 neg_lo:[1,1,0]
	v_dot4_i32_iu8 v42, v86, v90, v42 neg_lo:[1,1,0]
	v_dot4_i32_iu8 v43, v86, v91, v43 neg_lo:[1,1,0]
	v_dot4_i32_iu8 v48, v87, v88, v48 neg_lo:[1,1,0]
	v_dot4_i32_iu8 v49, v87, v89, v49 neg_lo:[1,1,0]
	v_dot4_i32_iu8 v50, v87, v90, v50 neg_lo:[1,1,0]
	v_dot4_i32_iu8 v51, v87, v91, v51 neg_lo:[1,1,0]
	ds_load_b128 v[16:19], v1 offset:19456
	s_wait_dscnt 0x2
	v_dot4_i32_iu8 v52, v84, v4, v52 neg_lo:[1,1,0]
	v_dot4_i32_iu8 v53, v84, v5, v53 neg_lo:[1,1,0]
	v_dot4_i32_iu8 v54, v84, v6, v54 neg_lo:[1,1,0]
	v_dot4_i32_iu8 v80, v84, v7, v12 neg_lo:[1,1,0]
	v_dot4_i32_iu8 v28, v85, v4, v28 neg_lo:[1,1,0]
	v_dot4_i32_iu8 v44, v85, v5, v44 neg_lo:[1,1,0]
	v_dot4_i32_iu8 v55, v85, v6, v55 neg_lo:[1,1,0]
	v_dot4_i32_iu8 v81, v85, v7, v13 neg_lo:[1,1,0]
	v_dot4_i32_iu8 v29, v86, v4, v29 neg_lo:[1,1,0]
	v_dot4_i32_iu8 v45, v86, v5, v45 neg_lo:[1,1,0]
	v_dot4_i32_iu8 v56, v86, v6, v56 neg_lo:[1,1,0]
	v_dot4_i32_iu8 v82, v86, v7, v14 neg_lo:[1,1,0]
	v_dot4_i32_iu8 v30, v87, v4, v30 neg_lo:[1,1,0]
	v_dot4_i32_iu8 v46, v87, v5, v46 neg_lo:[1,1,0]
	;; [unrolled: 18-line block ×3, first 2 shown]
	ds_load_b128 v[20:23], v1 offset:19712
	v_dot4_i32_iu8 v74, v11, v6, v74 neg_lo:[1,1,0]
	v_dot4_i32_iu8 v75, v11, v7, v75 neg_lo:[1,1,0]
	ds_load_b128 v[4:7], v0 offset:3328
	v_dot4_i32_iu8 v31, v8, v88, v31 neg_lo:[1,1,0]
	v_dot4_i32_iu8 v47, v8, v89, v47 neg_lo:[1,1,0]
	;; [unrolled: 1-line block ×16, first 2 shown]
	s_wait_dscnt 0x2
	v_dot4_i32_iu8 v79, v12, v16, v79 neg_lo:[1,1,0]
	v_dot4_i32_iu8 v24, v12, v17, v24 neg_lo:[1,1,0]
	;; [unrolled: 1-line block ×16, first 2 shown]
	ds_load_b128 v[8:11], v0 offset:3584
	s_wait_dscnt 0x1
	v_dot4_i32_iu8 v31, v4, v16, v31 neg_lo:[1,1,0]
	v_dot4_i32_iu8 v47, v4, v17, v47 neg_lo:[1,1,0]
	v_dot4_i32_iu8 v58, v4, v18, v58 neg_lo:[1,1,0]
	v_dot4_i32_iu8 v59, v4, v19, v59 neg_lo:[1,1,0]
	v_dot4_i32_iu8 v60, v5, v16, v60 neg_lo:[1,1,0]
	v_dot4_i32_iu8 v61, v5, v17, v61 neg_lo:[1,1,0]
	v_dot4_i32_iu8 v62, v5, v18, v62 neg_lo:[1,1,0]
	v_dot4_i32_iu8 v63, v5, v19, v63 neg_lo:[1,1,0]
	v_dot4_i32_iu8 v64, v6, v16, v64 neg_lo:[1,1,0]
	v_dot4_i32_iu8 v65, v6, v17, v65 neg_lo:[1,1,0]
	v_dot4_i32_iu8 v66, v6, v18, v66 neg_lo:[1,1,0]
	v_dot4_i32_iu8 v67, v6, v19, v67 neg_lo:[1,1,0]
	v_dot4_i32_iu8 v68, v7, v16, v68 neg_lo:[1,1,0]
	v_dot4_i32_iu8 v69, v7, v17, v69 neg_lo:[1,1,0]
	v_dot4_i32_iu8 v70, v7, v18, v70 neg_lo:[1,1,0]
	v_dot4_i32_iu8 v71, v7, v19, v71 neg_lo:[1,1,0]
	ds_load_b128 v[16:19], v1 offset:20224
	v_dot4_i32_iu8 v52, v12, v20, v52 neg_lo:[1,1,0]
	v_dot4_i32_iu8 v53, v12, v21, v53 neg_lo:[1,1,0]
	v_dot4_i32_iu8 v54, v12, v22, v54 neg_lo:[1,1,0]
	v_dot4_i32_iu8 v80, v12, v23, v80 neg_lo:[1,1,0]
	v_dot4_i32_iu8 v28, v13, v20, v28 neg_lo:[1,1,0]
	v_dot4_i32_iu8 v44, v13, v21, v44 neg_lo:[1,1,0]
	v_dot4_i32_iu8 v55, v13, v22, v55 neg_lo:[1,1,0]
	v_dot4_i32_iu8 v81, v13, v23, v81 neg_lo:[1,1,0]
	v_dot4_i32_iu8 v29, v14, v20, v29 neg_lo:[1,1,0]
	v_dot4_i32_iu8 v45, v14, v21, v45 neg_lo:[1,1,0]
	v_dot4_i32_iu8 v56, v14, v22, v56 neg_lo:[1,1,0]
	v_dot4_i32_iu8 v82, v14, v23, v82 neg_lo:[1,1,0]
	v_dot4_i32_iu8 v30, v15, v20, v30 neg_lo:[1,1,0]
	v_dot4_i32_iu8 v46, v15, v21, v46 neg_lo:[1,1,0]
	v_dot4_i32_iu8 v57, v15, v22, v57 neg_lo:[1,1,0]
	v_dot4_i32_iu8 v83, v15, v23, v83 neg_lo:[1,1,0]
	ds_load_b128 v[12:15], v1 offset:19968
	;; [unrolled: 17-line block ×3, first 2 shown]
	s_wait_dscnt 0x2
	v_dot4_i32_iu8 v52, v8, v16, v52 neg_lo:[1,1,0]
	v_dot4_i32_iu8 v53, v8, v17, v53 neg_lo:[1,1,0]
	;; [unrolled: 1-line block ×16, first 2 shown]
	ds_load_b128 v[20:23], v1 offset:20480
	s_wait_dscnt 0x2
	v_dot4_i32_iu8 v79, v8, v12, v79 neg_lo:[1,1,0]
	v_dot4_i32_iu8 v24, v8, v13, v24 neg_lo:[1,1,0]
	;; [unrolled: 1-line block ×16, first 2 shown]
	ds_load_b128 v[8:11], v0 offset:4096
	s_wait_dscnt 0x2
	v_dot4_i32_iu8 v31, v4, v12, v31 neg_lo:[1,1,0]
	v_dot4_i32_iu8 v47, v4, v13, v47 neg_lo:[1,1,0]
	v_dot4_i32_iu8 v58, v4, v14, v58 neg_lo:[1,1,0]
	v_dot4_i32_iu8 v59, v4, v15, v59 neg_lo:[1,1,0]
	v_dot4_i32_iu8 v60, v5, v12, v60 neg_lo:[1,1,0]
	v_dot4_i32_iu8 v61, v5, v13, v61 neg_lo:[1,1,0]
	v_dot4_i32_iu8 v62, v5, v14, v62 neg_lo:[1,1,0]
	v_dot4_i32_iu8 v63, v5, v15, v63 neg_lo:[1,1,0]
	v_dot4_i32_iu8 v64, v6, v12, v64 neg_lo:[1,1,0]
	v_dot4_i32_iu8 v65, v6, v13, v65 neg_lo:[1,1,0]
	v_dot4_i32_iu8 v66, v6, v14, v66 neg_lo:[1,1,0]
	v_dot4_i32_iu8 v67, v6, v15, v67 neg_lo:[1,1,0]
	v_dot4_i32_iu8 v68, v7, v12, v68 neg_lo:[1,1,0]
	v_dot4_i32_iu8 v69, v7, v13, v69 neg_lo:[1,1,0]
	v_dot4_i32_iu8 v70, v7, v14, v70 neg_lo:[1,1,0]
	v_dot4_i32_iu8 v71, v7, v15, v71 neg_lo:[1,1,0]
	v_dot4_i32_iu8 v84, v4, v16, v84 neg_lo:[1,1,0]
	v_dot4_i32_iu8 v85, v4, v17, v85 neg_lo:[1,1,0]
	v_dot4_i32_iu8 v86, v4, v18, v86 neg_lo:[1,1,0]
	v_dot4_i32_iu8 v76, v4, v19, v76 neg_lo:[1,1,0]
	v_dot4_i32_iu8 v87, v5, v16, v87 neg_lo:[1,1,0]
	v_dot4_i32_iu8 v32, v5, v17, v32 neg_lo:[1,1,0]
	v_dot4_i32_iu8 v36, v5, v18, v36 neg_lo:[1,1,0]
	v_dot4_i32_iu8 v77, v5, v19, v77 neg_lo:[1,1,0]
	v_dot4_i32_iu8 v33, v6, v16, v33 neg_lo:[1,1,0]
	v_dot4_i32_iu8 v37, v6, v17, v37 neg_lo:[1,1,0]
	v_dot4_i32_iu8 v38, v6, v18, v38 neg_lo:[1,1,0]
	v_dot4_i32_iu8 v78, v6, v19, v78 neg_lo:[1,1,0]
	v_dot4_i32_iu8 v72, v7, v16, v72 neg_lo:[1,1,0]
	v_dot4_i32_iu8 v73, v7, v17, v73 neg_lo:[1,1,0]
	ds_load_b128 v[12:15], v1 offset:20736
	v_dot4_i32_iu8 v74, v7, v18, v74 neg_lo:[1,1,0]
	v_dot4_i32_iu8 v75, v7, v19, v75 neg_lo:[1,1,0]
	ds_load_b128 v[4:7], v0 offset:4352
	s_wait_dscnt 0x2
	v_dot4_i32_iu8 v79, v8, v20, v79 neg_lo:[1,1,0]
	v_dot4_i32_iu8 v24, v8, v21, v24 neg_lo:[1,1,0]
	v_dot4_i32_iu8 v25, v8, v22, v25 neg_lo:[1,1,0]
	v_dot4_i32_iu8 v26, v8, v23, v26 neg_lo:[1,1,0]
	v_dot4_i32_iu8 v27, v9, v20, v27 neg_lo:[1,1,0]
	v_dot4_i32_iu8 v34, v9, v21, v34 neg_lo:[1,1,0]
	v_dot4_i32_iu8 v35, v9, v22, v35 neg_lo:[1,1,0]
	v_dot4_i32_iu8 v39, v9, v23, v39 neg_lo:[1,1,0]
	v_dot4_i32_iu8 v40, v10, v20, v40 neg_lo:[1,1,0]
	v_dot4_i32_iu8 v41, v10, v21, v41 neg_lo:[1,1,0]
	v_dot4_i32_iu8 v42, v10, v22, v42 neg_lo:[1,1,0]
	v_dot4_i32_iu8 v43, v10, v23, v43 neg_lo:[1,1,0]
	v_dot4_i32_iu8 v48, v11, v20, v48 neg_lo:[1,1,0]
	v_dot4_i32_iu8 v49, v11, v21, v49 neg_lo:[1,1,0]
	v_dot4_i32_iu8 v50, v11, v22, v50 neg_lo:[1,1,0]
	v_dot4_i32_iu8 v51, v11, v23, v51 neg_lo:[1,1,0]
	ds_load_b128 v[16:19], v1 offset:20992
	s_wait_dscnt 0x2
	v_dot4_i32_iu8 v52, v8, v12, v52 neg_lo:[1,1,0]
	v_dot4_i32_iu8 v53, v8, v13, v53 neg_lo:[1,1,0]
	v_dot4_i32_iu8 v54, v8, v14, v54 neg_lo:[1,1,0]
	v_dot4_i32_iu8 v80, v8, v15, v80 neg_lo:[1,1,0]
	v_dot4_i32_iu8 v28, v9, v12, v28 neg_lo:[1,1,0]
	v_dot4_i32_iu8 v44, v9, v13, v44 neg_lo:[1,1,0]
	v_dot4_i32_iu8 v55, v9, v14, v55 neg_lo:[1,1,0]
	v_dot4_i32_iu8 v81, v9, v15, v81 neg_lo:[1,1,0]
	v_dot4_i32_iu8 v29, v10, v12, v29 neg_lo:[1,1,0]
	v_dot4_i32_iu8 v45, v10, v13, v45 neg_lo:[1,1,0]
	v_dot4_i32_iu8 v56, v10, v14, v56 neg_lo:[1,1,0]
	v_dot4_i32_iu8 v82, v10, v15, v82 neg_lo:[1,1,0]
	v_dot4_i32_iu8 v30, v11, v12, v30 neg_lo:[1,1,0]
	v_dot4_i32_iu8 v46, v11, v13, v46 neg_lo:[1,1,0]
	;; [unrolled: 18-line block ×3, first 2 shown]
	v_dot4_i32_iu8 v70, v7, v22, v70 neg_lo:[1,1,0]
	v_dot4_i32_iu8 v71, v7, v23, v71 neg_lo:[1,1,0]
	;; [unrolled: 1-line block ×16, first 2 shown]
	ds_load_b128 v[20:23], v1 offset:21248
	v_dot4_i32_iu8 v74, v7, v14, v74 neg_lo:[1,1,0]
	v_dot4_i32_iu8 v75, v7, v15, v75 neg_lo:[1,1,0]
	ds_load_b128 v[4:7], v0 offset:4864
	s_wait_dscnt 0x2
	v_dot4_i32_iu8 v79, v8, v16, v79 neg_lo:[1,1,0]
	v_dot4_i32_iu8 v24, v8, v17, v24 neg_lo:[1,1,0]
	v_dot4_i32_iu8 v25, v8, v18, v25 neg_lo:[1,1,0]
	v_dot4_i32_iu8 v26, v8, v19, v26 neg_lo:[1,1,0]
	v_dot4_i32_iu8 v27, v9, v16, v27 neg_lo:[1,1,0]
	v_dot4_i32_iu8 v34, v9, v17, v34 neg_lo:[1,1,0]
	v_dot4_i32_iu8 v35, v9, v18, v35 neg_lo:[1,1,0]
	v_dot4_i32_iu8 v39, v9, v19, v39 neg_lo:[1,1,0]
	v_dot4_i32_iu8 v40, v10, v16, v40 neg_lo:[1,1,0]
	v_dot4_i32_iu8 v41, v10, v17, v41 neg_lo:[1,1,0]
	v_dot4_i32_iu8 v42, v10, v18, v42 neg_lo:[1,1,0]
	v_dot4_i32_iu8 v43, v10, v19, v43 neg_lo:[1,1,0]
	v_dot4_i32_iu8 v48, v11, v16, v48 neg_lo:[1,1,0]
	v_dot4_i32_iu8 v49, v11, v17, v49 neg_lo:[1,1,0]
	v_dot4_i32_iu8 v50, v11, v18, v50 neg_lo:[1,1,0]
	v_dot4_i32_iu8 v51, v11, v19, v51 neg_lo:[1,1,0]
	ds_load_b128 v[12:15], v1 offset:21504
	s_wait_dscnt 0x2
	v_dot4_i32_iu8 v52, v8, v20, v52 neg_lo:[1,1,0]
	v_dot4_i32_iu8 v53, v8, v21, v53 neg_lo:[1,1,0]
	v_dot4_i32_iu8 v54, v8, v22, v54 neg_lo:[1,1,0]
	v_dot4_i32_iu8 v80, v8, v23, v80 neg_lo:[1,1,0]
	v_dot4_i32_iu8 v28, v9, v20, v28 neg_lo:[1,1,0]
	v_dot4_i32_iu8 v44, v9, v21, v44 neg_lo:[1,1,0]
	v_dot4_i32_iu8 v55, v9, v22, v55 neg_lo:[1,1,0]
	v_dot4_i32_iu8 v81, v9, v23, v81 neg_lo:[1,1,0]
	v_dot4_i32_iu8 v29, v10, v20, v29 neg_lo:[1,1,0]
	v_dot4_i32_iu8 v45, v10, v21, v45 neg_lo:[1,1,0]
	v_dot4_i32_iu8 v56, v10, v22, v56 neg_lo:[1,1,0]
	v_dot4_i32_iu8 v82, v10, v23, v82 neg_lo:[1,1,0]
	v_dot4_i32_iu8 v30, v11, v20, v30 neg_lo:[1,1,0]
	v_dot4_i32_iu8 v46, v11, v21, v46 neg_lo:[1,1,0]
	;; [unrolled: 18-line block ×3, first 2 shown]
	v_dot4_i32_iu8 v70, v7, v18, v70 neg_lo:[1,1,0]
	v_dot4_i32_iu8 v71, v7, v19, v71 neg_lo:[1,1,0]
	;; [unrolled: 1-line block ×16, first 2 shown]
	ds_load_b128 v[16:19], v1 offset:21760
	v_dot4_i32_iu8 v74, v7, v22, v74 neg_lo:[1,1,0]
	v_dot4_i32_iu8 v75, v7, v23, v75 neg_lo:[1,1,0]
	ds_load_b128 v[4:7], v0 offset:5376
	s_wait_dscnt 0x2
	v_dot4_i32_iu8 v79, v8, v12, v79 neg_lo:[1,1,0]
	v_dot4_i32_iu8 v24, v8, v13, v24 neg_lo:[1,1,0]
	;; [unrolled: 1-line block ×16, first 2 shown]
	ds_load_b128 v[20:23], v1 offset:22016
	s_wait_dscnt 0x2
	v_dot4_i32_iu8 v52, v8, v16, v52 neg_lo:[1,1,0]
	v_dot4_i32_iu8 v53, v8, v17, v53 neg_lo:[1,1,0]
	;; [unrolled: 1-line block ×16, first 2 shown]
	ds_load_b128 v[8:11], v0 offset:5632
	s_wait_dscnt 0x2
	v_dot4_i32_iu8 v31, v4, v12, v31 neg_lo:[1,1,0]
	v_dot4_i32_iu8 v47, v4, v13, v47 neg_lo:[1,1,0]
	;; [unrolled: 1-line block ×8, first 2 shown]
	v_mul_lo_u32 v4, v3, s34
	v_dot4_i32_iu8 v60, v5, v12, v60 neg_lo:[1,1,0]
	v_dot4_i32_iu8 v61, v5, v13, v61 neg_lo:[1,1,0]
	;; [unrolled: 1-line block ×16, first 2 shown]
	v_mad_co_u64_u32 v[5:6], null, v2, s35, v[4:5]
	v_dot4_i32_iu8 v68, v7, v12, v68 neg_lo:[1,1,0]
	v_dot4_i32_iu8 v69, v7, v13, v69 neg_lo:[1,1,0]
	;; [unrolled: 1-line block ×6, first 2 shown]
	buffer_load_b32 v4, v5, s[12:15], null offen
	ds_load_b128 v[12:15], v1 offset:22272
	v_dot4_i32_iu8 v74, v7, v18, v74 neg_lo:[1,1,0]
	v_dot4_i32_iu8 v75, v7, v19, v75 neg_lo:[1,1,0]
	ds_load_b128 v[16:19], v0 offset:5888
	v_add_nc_u32_e32 v6, s0, v5
	s_wait_dscnt 0x2
	v_dot4_i32_iu8 v79, v8, v20, v79 neg_lo:[1,1,0]
	v_dot4_i32_iu8 v24, v8, v21, v24 neg_lo:[1,1,0]
	;; [unrolled: 1-line block ×4, first 2 shown]
	buffer_load_b32 v5, v6, s[12:15], null offen
	v_dot4_i32_iu8 v27, v9, v20, v27 neg_lo:[1,1,0]
	v_dot4_i32_iu8 v34, v9, v21, v34 neg_lo:[1,1,0]
	;; [unrolled: 1-line block ×12, first 2 shown]
	s_wait_dscnt 0x1
	v_dot4_i32_iu8 v52, v8, v12, v52 neg_lo:[1,1,0]
	v_dot4_i32_iu8 v53, v8, v13, v53 neg_lo:[1,1,0]
	;; [unrolled: 1-line block ×12, first 2 shown]
	ds_load_b128 v[7:10], v0 offset:6144
	s_wait_dscnt 0x1
	v_dot4_i32_iu8 v31, v16, v20, v31 neg_lo:[1,1,0]
	v_dot4_i32_iu8 v47, v16, v21, v47 neg_lo:[1,1,0]
	;; [unrolled: 1-line block ×16, first 2 shown]
	ds_load_b128 v[20:23], v1 offset:22528
	v_dot4_i32_iu8 v72, v19, v12, v72 neg_lo:[1,1,0]
	v_dot4_i32_iu8 v73, v19, v13, v73 neg_lo:[1,1,0]
	;; [unrolled: 1-line block ×4, first 2 shown]
	v_add_nc_u32_e32 v19, s1, v6
	v_dot4_i32_iu8 v30, v11, v12, v30 neg_lo:[1,1,0]
	v_dot4_i32_iu8 v46, v11, v13, v46 neg_lo:[1,1,0]
	;; [unrolled: 1-line block ×16, first 2 shown]
	ds_load_b128 v[11:14], v1 offset:22784
	ds_load_b128 v[15:18], v0 offset:6400
	buffer_load_b32 v6, v19, s[12:15], null offen
	s_wait_dscnt 0x2
	v_dot4_i32_iu8 v91, v8, v20, v27 neg_lo:[1,1,0]
	v_dot4_i32_iu8 v34, v8, v21, v34 neg_lo:[1,1,0]
	;; [unrolled: 1-line block ×16, first 2 shown]
	ds_load_b128 v[24:27], v0 offset:6656
	s_wait_dscnt 0x2
	v_dot4_i32_iu8 v28, v8, v11, v28 neg_lo:[1,1,0]
	v_dot4_i32_iu8 v44, v8, v12, v44 neg_lo:[1,1,0]
	;; [unrolled: 1-line block ×4, first 2 shown]
	v_add_nc_u32_e32 v8, s0, v19
	v_dot4_i32_iu8 v52, v7, v11, v52 neg_lo:[1,1,0]
	v_dot4_i32_iu8 v53, v7, v12, v53 neg_lo:[1,1,0]
	;; [unrolled: 1-line block ×8, first 2 shown]
	buffer_load_b32 v7, v8, s[12:15], null offen
	v_add_nc_u32_e32 v9, s1, v8
	s_wait_dscnt 0x1
	v_dot4_i32_iu8 v59, v15, v23, v59 neg_lo:[1,1,0]
	v_dot4_i32_iu8 v63, v16, v23, v63 neg_lo:[1,1,0]
	;; [unrolled: 1-line block ×4, first 2 shown]
	v_add_nc_u32_e32 v23, s0, v9
	v_dot4_i32_iu8 v68, v18, v20, v68 neg_lo:[1,1,0]
	v_dot4_i32_iu8 v69, v18, v21, v69 neg_lo:[1,1,0]
	;; [unrolled: 1-line block ×7, first 2 shown]
	v_add_nc_u32_e32 v18, s1, v23
	v_dot4_i32_iu8 v30, v10, v11, v30 neg_lo:[1,1,0]
	v_dot4_i32_iu8 v46, v10, v12, v46 neg_lo:[1,1,0]
	;; [unrolled: 1-line block ×22, first 2 shown]
	ds_load_b128 v[10:13], v1 offset:23296
	s_clause 0x1
	buffer_load_b32 v92, v18, s[12:15], null offen
	buffer_load_b32 v8, v9, s[12:15], null offen
	ds_load_b128 v[19:22], v1 offset:23040
	v_add_nc_u32_e32 v18, s0, v18
	v_dot4_i32_iu8 v76, v15, v14, v76 neg_lo:[1,1,0]
	v_dot4_i32_iu8 v77, v16, v14, v77 neg_lo:[1,1,0]
	v_dot4_i32_iu8 v78, v17, v14, v78 neg_lo:[1,1,0]
	ds_load_b128 v[14:17], v0 offset:6912
	v_add3_u32 v93, s1, s2, v18
	v_cmp_gt_i32_e32 vcc_lo, s29, v2
	buffer_load_b32 v94, v93, s[12:15], null offen
	s_wait_dscnt 0x2
	v_dot4_i32_iu8 v30, v27, v10, v30 neg_lo:[1,1,0]
	v_dot4_i32_iu8 v46, v27, v11, v46 neg_lo:[1,1,0]
	;; [unrolled: 1-line block ×3, first 2 shown]
	s_wait_dscnt 0x1
	v_dot4_i32_iu8 v48, v27, v19, v48 neg_lo:[1,1,0]
	v_dot4_i32_iu8 v49, v27, v20, v49 neg_lo:[1,1,0]
	;; [unrolled: 1-line block ×5, first 2 shown]
	s_clause 0x1
	buffer_load_b32 v83, v18, s[12:15], null offen
	buffer_load_b32 v9, v23, s[12:15], null offen
	v_dot4_i32_iu8 v90, v24, v22, v90 neg_lo:[1,1,0]
	v_dot4_i32_iu8 v39, v25, v22, v39 neg_lo:[1,1,0]
	v_dot4_i32_iu8 v43, v26, v22, v43 neg_lo:[1,1,0]
	s_wait_dscnt 0x0
	v_dot4_i32_iu8 v59, v14, v22, v59 neg_lo:[1,1,0]
	v_dot4_i32_iu8 v63, v15, v22, v63 neg_lo:[1,1,0]
	;; [unrolled: 1-line block ×4, first 2 shown]
	v_add_nc_u32_e32 v22, s0, v93
	v_dot4_i32_iu8 v79, v24, v19, v79 neg_lo:[1,1,0]
	v_dot4_i32_iu8 v88, v24, v20, v88 neg_lo:[1,1,0]
	;; [unrolled: 1-line block ×21, first 2 shown]
	ds_load_b128 v[23:26], v0 offset:7168
	v_dot4_i32_iu8 v31, v14, v19, v31 neg_lo:[1,1,0]
	v_dot4_i32_iu8 v47, v14, v20, v47 neg_lo:[1,1,0]
	;; [unrolled: 1-line block ×12, first 2 shown]
	ds_load_b128 v[18:21], v1 offset:23552
	v_dot4_i32_iu8 v84, v14, v10, v84 neg_lo:[1,1,0]
	v_dot4_i32_iu8 v85, v14, v11, v85 neg_lo:[1,1,0]
	;; [unrolled: 1-line block ×16, first 2 shown]
	ds_load_b128 v[10:13], v1 offset:23808
	ds_load_b128 v[14:17], v0 offset:7424
	buffer_load_b32 v93, v22, s[12:15], null offen
	v_add_nc_u32_e32 v95, s1, v22
	s_wait_dscnt 0x2
	v_dot4_i32_iu8 v48, v26, v18, v48 neg_lo:[1,1,0]
	v_dot4_i32_iu8 v49, v26, v19, v49 neg_lo:[1,1,0]
	;; [unrolled: 1-line block ×4, first 2 shown]
	buffer_load_b32 v96, v95, s[12:15], null offen
	v_dot4_i32_iu8 v79, v23, v18, v79 neg_lo:[1,1,0]
	v_dot4_i32_iu8 v88, v23, v19, v88 neg_lo:[1,1,0]
	;; [unrolled: 1-line block ×11, first 2 shown]
	s_wait_dscnt 0x1
	v_dot4_i32_iu8 v30, v26, v10, v30 neg_lo:[1,1,0]
	v_dot4_i32_iu8 v46, v26, v11, v46 neg_lo:[1,1,0]
	;; [unrolled: 1-line block ×4, first 2 shown]
	s_wait_dscnt 0x0
	v_dot4_i32_iu8 v27, v14, v18, v31 neg_lo:[1,1,0]
	v_add_nc_u32_e32 v31, s0, v95
	v_dot4_i32_iu8 v43, v25, v21, v43 neg_lo:[1,1,0]
	v_dot4_i32_iu8 v52, v23, v10, v52 neg_lo:[1,1,0]
	;; [unrolled: 1-line block ×4, first 2 shown]
	buffer_load_b32 v95, v31, s[12:15], null offen
	v_add_nc_u32_e32 v31, s1, v31
	v_dot4_i32_iu8 v80, v23, v13, v80 neg_lo:[1,1,0]
	v_dot4_i32_iu8 v28, v24, v10, v28 neg_lo:[1,1,0]
	;; [unrolled: 1-line block ×9, first 2 shown]
	ds_load_b128 v[22:25], v0 offset:7680
	v_dot4_i32_iu8 v47, v14, v19, v47 neg_lo:[1,1,0]
	v_dot4_i32_iu8 v58, v14, v20, v58 neg_lo:[1,1,0]
	;; [unrolled: 1-line block ×15, first 2 shown]
	ds_load_b128 v[18:21], v1 offset:24064
	buffer_load_b32 v97, v31, s[12:15], null offen
	v_add_nc_u32_e32 v31, s0, v31
	v_dot4_i32_iu8 v84, v14, v10, v84 neg_lo:[1,1,0]
	v_dot4_i32_iu8 v85, v14, v11, v85 neg_lo:[1,1,0]
	v_dot4_i32_iu8 v86, v14, v12, v86 neg_lo:[1,1,0]
	v_dot4_i32_iu8 v76, v14, v13, v76 neg_lo:[1,1,0]
	v_dot4_i32_iu8 v87, v15, v10, v87 neg_lo:[1,1,0]
	v_dot4_i32_iu8 v32, v15, v11, v32 neg_lo:[1,1,0]
	v_dot4_i32_iu8 v36, v15, v12, v36 neg_lo:[1,1,0]
	v_dot4_i32_iu8 v77, v15, v13, v77 neg_lo:[1,1,0]
	v_dot4_i32_iu8 v33, v16, v10, v33 neg_lo:[1,1,0]
	v_dot4_i32_iu8 v37, v16, v11, v37 neg_lo:[1,1,0]
	v_dot4_i32_iu8 v38, v16, v12, v38 neg_lo:[1,1,0]
	v_dot4_i32_iu8 v78, v16, v13, v78 neg_lo:[1,1,0]
	v_dot4_i32_iu8 v72, v17, v10, v72 neg_lo:[1,1,0]
	v_dot4_i32_iu8 v73, v17, v11, v73 neg_lo:[1,1,0]
	v_dot4_i32_iu8 v74, v17, v12, v74 neg_lo:[1,1,0]
	v_dot4_i32_iu8 v75, v17, v13, v75 neg_lo:[1,1,0]
	ds_load_b128 v[10:13], v1 offset:24320
	ds_load_b128 v[14:17], v0 offset:7936
	s_wait_dscnt 0x2
	v_dot4_i32_iu8 v1, v22, v19, v88 neg_lo:[1,1,0]
	v_dot4_i32_iu8 v88, v22, v21, v90 neg_lo:[1,1,0]
	buffer_load_b32 v90, v31, s[12:15], null offen
	v_add_nc_u32_e32 v31, s1, v31
	v_dot4_i32_iu8 v0, v22, v18, v79 neg_lo:[1,1,0]
	v_dot4_i32_iu8 v79, v22, v20, v89 neg_lo:[1,1,0]
	;; [unrolled: 1-line block ×6, first 2 shown]
	v_cmp_gt_i32_e64 s1, s28, v3
	v_dot4_i32_iu8 v39, v23, v21, v39 neg_lo:[1,1,0]
	v_dot4_i32_iu8 v43, v24, v21, v43 neg_lo:[1,1,0]
	;; [unrolled: 1-line block ×7, first 2 shown]
	s_wait_dscnt 0x1
	v_dot4_i32_iu8 v52, v22, v10, v52 neg_lo:[1,1,0]
	v_dot4_i32_iu8 v53, v22, v11, v53 neg_lo:[1,1,0]
	;; [unrolled: 1-line block ×4, first 2 shown]
	buffer_load_b32 v80, v31, s[12:15], null offen
	v_dot4_i32_iu8 v30, v25, v10, v30 neg_lo:[1,1,0]
	v_dot4_i32_iu8 v46, v25, v11, v46 neg_lo:[1,1,0]
	;; [unrolled: 1-line block ×4, first 2 shown]
	s_wait_dscnt 0x0
	v_dot4_i32_iu8 v26, v14, v18, v27 neg_lo:[1,1,0]
	v_add_nc_u32_e32 v27, s0, v31
	s_and_b32 s0, s1, vcc_lo
	v_dot4_i32_iu8 v42, v24, v20, v42 neg_lo:[1,1,0]
	s_wait_loadcnt 0xe
	s_wait_alu 0xfffe
	v_cndmask_b32_e64 v4, 0, v4, s0
	v_dot4_i32_iu8 v28, v23, v10, v28 neg_lo:[1,1,0]
	buffer_load_b32 v27, v27, s[12:15], null offen
	v_dot4_i32_iu8 v31, v14, v19, v47 neg_lo:[1,1,0]
	v_dot4_i32_iu8 v47, v14, v20, v58 neg_lo:[1,1,0]
	;; [unrolled: 1-line block ×12, first 2 shown]
	v_lshrrev_b32_e32 v71, 8, v4
	v_add_nc_u16 v0, v4, v0
	v_dot4_i32_iu8 v44, v23, v11, v44 neg_lo:[1,1,0]
	v_dot4_i32_iu8 v55, v23, v12, v55 neg_lo:[1,1,0]
	;; [unrolled: 1-line block ×3, first 2 shown]
	v_add_nc_u16 v1, v71, v1
	v_add_nc_u32_e32 v71, 64, v2
	v_bfe_i32 v0, v0, 0, 8
	v_dot4_i32_iu8 v29, v24, v10, v29 neg_lo:[1,1,0]
	v_dot4_i32_iu8 v45, v24, v11, v45 neg_lo:[1,1,0]
	;; [unrolled: 1-line block ×3, first 2 shown]
	v_cmp_gt_i32_e64 s0, s29, v71
	v_dot4_i32_iu8 v24, v24, v13, v82 neg_lo:[1,1,0]
	v_dot4_i32_iu8 v18, v17, v18, v68 neg_lo:[1,1,0]
	;; [unrolled: 1-line block ×20, first 2 shown]
	v_lshrrev_b32_e32 v17, 16, v4
	v_lshrrev_b32_e32 v4, 24, v4
	v_max_i16 v0, v0, 0
	s_and_b32 s1, s1, s0
	v_or_b32_e32 v77, 0x43, v3
	v_add_nc_u16 v17, v17, v79
	s_wait_loadcnt 0xe
	s_wait_alu 0xfffe
	v_cndmask_b32_e64 v5, 0, v5, s1
	v_and_b32_e32 v72, 0xffff, v0
	v_add_nc_u16 v0, v4, v88
	v_bfe_i32 v1, v1, 0, 8
	v_bfe_i32 v4, v17, 0, 8
	v_add_nc_u16 v17, v5, v52
	v_or_b32_e32 v52, 1, v3
	v_bfe_i32 v0, v0, 0, 8
	v_lshrrev_b32_e32 v73, 8, v5
	v_max_i16 v1, v1, 0
	v_max_i16 v4, v4, 0
	v_cmp_gt_i32_e64 s1, s28, v52
	v_max_i16 v74, v0, 0
	v_add_nc_u16 v0, v73, v53
	v_lshrrev_b32_e32 v53, 16, v5
	v_lshrrev_b32_e32 v5, 24, v5
	s_and_b32 s2, s1, vcc_lo
	s_and_b32 s1, s1, s0
	s_wait_loadcnt 0xd
	s_wait_alu 0xfffe
	v_cndmask_b32_e64 v6, 0, v6, s2
	v_bfe_i32 v0, v0, 0, 8
	v_add_nc_u16 v53, v53, v54
	v_add_nc_u16 v5, v5, v22
	v_and_b32_e32 v1, 0xffff, v1
	v_lshrrev_b32_e32 v54, 8, v6
	v_max_i16 v0, v0, 0
	v_bfe_i32 v22, v53, 0, 8
	v_add_nc_u16 v53, v6, v89
	v_bfe_i32 v17, v17, 0, 8
	v_add_nc_u16 v34, v54, v34
	v_and_b32_e32 v54, 0xffff, v0
	v_bfe_i32 v0, v5, 0, 8
	v_max_i16 v5, v22, 0
	v_bfe_i32 v22, v53, 0, 8
	v_bfe_i32 v34, v34, 0, 8
	v_lshrrev_b32_e32 v53, 16, v6
	v_max_i16 v73, v0, 0
	v_lshrrev_b32_e32 v0, 24, v6
	s_wait_loadcnt 0xc
	v_cndmask_b32_e64 v7, 0, v7, s1
	v_max_i16 v6, v22, 0
	v_max_i16 v22, v34, 0
	v_add_nc_u16 v34, v53, v35
	v_add_nc_u16 v0, v0, v39
	v_or_b32_e32 v35, 2, v3
	v_lshrrev_b32_e32 v39, 8, v7
	v_add_nc_u16 v28, v7, v28
	v_lshlrev_b32_e32 v4, 16, v4
	v_bfe_i32 v0, v0, 0, 8
	v_cmp_gt_i32_e64 s1, s28, v35
	v_max_i16 v17, v17, 0
	v_bfe_i32 v28, v28, 0, 8
	v_lshlrev_b32_e32 v5, 16, v5
	v_max_i16 v53, v0, 0
	v_add_nc_u16 v0, v39, v44
	s_and_b32 s2, s1, vcc_lo
	v_lshrrev_b32_e32 v39, 16, v7
	v_lshrrev_b32_e32 v7, 24, v7
	s_and_b32 s1, s1, s0
	v_bfe_i32 v0, v0, 0, 8
	v_and_b32_e32 v17, 0xffff, v17
	v_add_nc_u16 v39, v39, v55
	v_add_nc_u16 v7, v7, v23
	v_max_i16 v28, v28, 0
	v_max_i16 v0, v0, 0
	v_bfe_i32 v34, v34, 0, 8
	v_bfe_i32 v23, v39, 0, 8
	v_and_b32_e32 v6, 0xffff, v6
	v_and_b32_e32 v28, 0xffff, v28
	;; [unrolled: 1-line block ×3, first 2 shown]
	v_max_i16 v34, v34, 0
	s_delay_alu instid0(VALU_DEP_2) | instskip(SKIP_3) | instid1(VALU_DEP_1)
	v_lshl_or_b32 v6, v22, 8, v6
	s_wait_loadcnt 0xa
	s_wait_alu 0xfffe
	v_cndmask_b32_e64 v8, 0, v8, s2
	v_lshrrev_b32_e32 v44, 8, v8
	v_add_nc_u16 v39, v8, v40
	s_delay_alu instid0(VALU_DEP_2)
	v_add_nc_u16 v40, v44, v41
	v_and_b32_e32 v41, 0xffff, v0
	v_bfe_i32 v0, v7, 0, 8
	v_max_i16 v7, v23, 0
	v_bfe_i32 v23, v39, 0, 8
	v_bfe_i32 v39, v40, 0, 8
	v_lshrrev_b32_e32 v40, 16, v8
	v_max_i16 v44, v0, 0
	v_lshrrev_b32_e32 v0, 24, v8
	v_max_i16 v8, v23, 0
	v_max_i16 v23, v39, 0
	v_add_nc_u16 v39, v40, v42
	v_or_b32_e32 v40, 3, v3
	v_add_nc_u16 v0, v0, v43
	v_lshlrev_b32_e32 v7, 16, v7
	v_and_b32_e32 v8, 0xffff, v8
	v_bfe_i32 v39, v39, 0, 8
	s_wait_loadcnt 0x7
	v_cndmask_b32_e64 v9, 0, v9, s1
	v_bfe_i32 v0, v0, 0, 8
	v_cmp_gt_i32_e64 s1, s28, v40
	v_and_b32_e32 v23, 0xffff, v23
	v_max_i16 v39, v39, 0
	v_lshrrev_b32_e32 v42, 8, v9
	v_max_i16 v43, v0, 0
	s_and_b32 s2, s1, vcc_lo
	v_add_nc_u16 v29, v9, v29
	s_and_b32 s1, s1, s0
	v_add_nc_u16 v0, v42, v45
	v_lshrrev_b32_e32 v42, 16, v9
	s_wait_alu 0xfffe
	v_cndmask_b32_e64 v45, 0, v92, s2
	v_lshrrev_b32_e32 v9, 24, v9
	v_bfe_i32 v29, v29, 0, 8
	v_bfe_i32 v0, v0, 0, 8
	v_add_nc_u16 v42, v42, v56
	v_lshrrev_b32_e32 v55, 8, v45
	v_add_nc_u16 v9, v9, v24
	v_max_i16 v29, v29, 0
	v_max_i16 v0, v0, 0
	v_bfe_i32 v24, v42, 0, 8
	v_add_nc_u16 v42, v45, v48
	v_add_nc_u16 v48, v55, v49
	v_lshl_or_b32 v8, v23, 8, v8
	v_and_b32_e32 v49, 0xffff, v0
	v_bfe_i32 v0, v9, 0, 8
	v_max_i16 v9, v24, 0
	v_bfe_i32 v24, v42, 0, 8
	v_bfe_i32 v42, v48, 0, 8
	v_lshrrev_b32_e32 v48, 16, v45
	v_max_i16 v55, v0, 0
	v_lshrrev_b32_e32 v0, 24, v45
	v_and_b32_e32 v29, 0xffff, v29
	v_max_i16 v24, v24, 0
	v_add_nc_u16 v45, v48, v50
	v_cndmask_b32_e64 v48, 0, v83, s1
	v_add_nc_u16 v0, v0, v51
	v_or_b32_e32 v50, 64, v3
	v_max_i16 v42, v42, 0
	v_bfe_i32 v45, v45, 0, 8
	v_lshrrev_b32_e32 v51, 8, v48
	v_bfe_i32 v0, v0, 0, 8
	v_cmp_gt_i32_e64 s1, s28, v50
	v_add_nc_u16 v30, v48, v30
	v_lshlrev_b32_e32 v9, 16, v9
	v_and_b32_e32 v24, 0xffff, v24
	v_max_i16 v56, v0, 0
	v_add_nc_u16 v0, v51, v46
	v_lshrrev_b32_e32 v46, 16, v48
	v_lshrrev_b32_e32 v48, 24, v48
	s_and_b32 s2, s1, vcc_lo
	s_and_b32 s1, s1, s0
	v_bfe_i32 v0, v0, 0, 8
	s_wait_alu 0xfffe
	v_cndmask_b32_e64 v51, 0, v94, s2
	v_add_nc_u16 v25, v48, v25
	v_add_nc_u16 v46, v46, v57
	v_bfe_i32 v30, v30, 0, 8
	v_max_i16 v0, v0, 0
	v_lshrrev_b32_e32 v57, 8, v51
	v_add_nc_u16 v26, v51, v26
	v_bfe_i32 v46, v46, 0, 8
	v_max_i16 v30, v30, 0
	v_and_b32_e32 v48, 0xffff, v0
	v_bfe_i32 v0, v25, 0, 8
	v_add_nc_u16 v31, v57, v31
	v_max_i16 v25, v46, 0
	v_lshrrev_b32_e32 v46, 16, v51
	v_and_b32_e32 v30, 0xffff, v30
	v_max_i16 v57, v0, 0
	v_lshrrev_b32_e32 v0, 24, v51
	v_and_b32_e32 v42, 0xffff, v42
	v_add_nc_u16 v46, v46, v47
	s_wait_loadcnt 0x6
	v_cndmask_b32_e64 v47, 0, v93, s1
	v_max_i16 v45, v45, 0
	v_add_nc_u16 v0, v0, v58
	v_or_b32_e32 v58, 0x41, v3
	v_bfe_i32 v26, v26, 0, 8
	v_add_nc_u16 v51, v47, v67
	v_lshrrev_b32_e32 v67, 8, v47
	v_bfe_i32 v0, v0, 0, 8
	v_cmp_gt_i32_e64 s1, s28, v58
	v_bfe_i32 v31, v31, 0, 8
	v_bfe_i32 v51, v51, 0, 8
	v_max_i16 v26, v26, 0
	v_max_i16 v75, v0, 0
	s_and_b32 s2, s1, vcc_lo
	v_add_nc_u16 v0, v67, v68
	v_lshrrev_b32_e32 v67, 16, v47
	s_wait_loadcnt 0x5
	s_wait_alu 0xfffe
	v_cndmask_b32_e64 v68, 0, v96, s2
	v_lshrrev_b32_e32 v47, 24, v47
	s_and_b32 s1, s1, s0
	v_bfe_i32 v0, v0, 0, 8
	v_add_nc_u16 v67, v67, v69
	v_lshrrev_b32_e32 v69, 8, v68
	v_add_nc_u16 v14, v47, v14
	v_add_nc_u16 v59, v68, v59
	v_max_i16 v0, v0, 0
	v_bfe_i32 v47, v67, 0, 8
	v_add_nc_u16 v60, v69, v60
	v_max_i16 v51, v51, 0
	v_max_i16 v31, v31, 0
	v_and_b32_e32 v67, 0xffff, v0
	v_bfe_i32 v0, v14, 0, 8
	v_max_i16 v14, v47, 0
	v_bfe_i32 v47, v59, 0, 8
	v_bfe_i32 v59, v60, 0, 8
	v_lshrrev_b32_e32 v60, 16, v68
	v_max_i16 v69, v0, 0
	v_lshrrev_b32_e32 v0, 24, v68
	v_or_b32_e32 v68, 0x42, v3
	v_max_i16 v47, v47, 0
	v_add_nc_u16 v60, v60, v61
	s_wait_loadcnt 0x4
	s_wait_alu 0xfffe
	v_cndmask_b32_e64 v61, 0, v95, s1
	v_add_nc_u16 v0, v0, v62
	v_cmp_gt_i32_e64 s1, s28, v68
	v_max_i16 v59, v59, 0
	v_bfe_i32 v60, v60, 0, 8
	v_add_nc_u16 v62, v61, v70
	v_bfe_i32 v0, v0, 0, 8
	v_lshrrev_b32_e32 v70, 8, v61
	s_and_b32 s2, s1, vcc_lo
	s_and_b32 s1, s1, s0
	v_bfe_i32 v62, v62, 0, 8
	v_max_i16 v76, v0, 0
	v_add_nc_u16 v0, v70, v32
	v_lshrrev_b32_e32 v32, 16, v61
	s_wait_loadcnt 0x3
	s_wait_alu 0xfffe
	v_cndmask_b32_e64 v70, 0, v97, s2
	v_max_i16 v62, v62, 0
	v_and_b32_e32 v47, 0xffff, v47
	v_bfe_i32 v0, v0, 0, 8
	v_add_nc_u16 v32, v32, v36
	v_lshrrev_b32_e32 v36, 24, v61
	v_and_b32_e32 v61, 0xffff, v62
	v_lshrrev_b32_e32 v62, 8, v70
	v_max_i16 v0, v0, 0
	v_and_b32_e32 v59, 0xffff, v59
	v_add_nc_u16 v15, v36, v15
	v_add_nc_u16 v36, v70, v63
	;; [unrolled: 1-line block ×3, first 2 shown]
	v_and_b32_e32 v63, 0xffff, v0
	v_lshrrev_b32_e32 v64, 24, v70
	v_bfe_i32 v0, v15, 0, 8
	v_bfe_i32 v15, v36, 0, 8
	;; [unrolled: 1-line block ×3, first 2 shown]
	v_lshrrev_b32_e32 v62, 16, v70
	v_max_i16 v60, v60, 0
	v_max_i16 v70, v0, 0
	;; [unrolled: 1-line block ×4, first 2 shown]
	v_add_nc_u16 v36, v62, v65
	v_add_nc_u16 v62, v64, v66
	s_wait_loadcnt 0x2
	v_cndmask_b32_e64 v64, 0, v90, s1
	v_and_b32_e32 v65, 0xffff, v0
	v_cmp_gt_i32_e64 s1, s28, v77
	v_bfe_i32 v0, v36, 0, 8
	v_bfe_i32 v36, v62, 0, 8
	v_add_nc_u16 v33, v64, v33
	v_lshrrev_b32_e32 v62, 8, v64
	s_and_b32 vcc_lo, s1, vcc_lo
	v_max_i16 v66, v0, 0
	v_bfe_i32 v32, v32, 0, 8
	v_bfe_i32 v0, v33, 0, 8
	v_add_nc_u16 v33, v62, v37
	v_lshrrev_b32_e32 v37, 16, v64
	v_lshrrev_b32_e32 v62, 24, v64
	v_and_b32_e32 v15, 0xffff, v15
	v_max_i16 v0, v0, 0
	v_bfe_i32 v33, v33, 0, 8
	v_add_nc_u16 v37, v37, v38
	s_wait_loadcnt 0x1
	s_wait_alu 0xfffe
	v_cndmask_b32_e32 v38, 0, v80, vcc_lo
	v_add_nc_u16 v16, v62, v16
	v_and_b32_e32 v62, 0xffff, v0
	v_max_i16 v0, v33, 0
	v_bfe_i32 v33, v37, 0, 8
	v_lshrrev_b32_e32 v37, 8, v38
	s_and_b32 vcc_lo, s1, s0
	v_cmp_gt_i32_e64 s0, s26, v3
	s_wait_loadcnt 0x0
	s_wait_alu 0xfffe
	v_dual_cndmask_b32 v27, 0, v27 :: v_dual_and_b32 v64, 0xffff, v0
	v_add_nc_u16 v0, v37, v19
	v_lshrrev_b32_e32 v19, 16, v38
	v_cmp_gt_i32_e32 vcc_lo, s27, v2
	v_add_nc_u16 v18, v38, v18
	v_lshrrev_b32_e32 v37, 8, v27
	v_bfe_i32 v0, v0, 0, 8
	v_add_nc_u16 v19, v19, v20
	v_lshrrev_b32_e32 v20, 24, v38
	v_add_nc_u16 v10, v27, v10
	v_add_nc_u16 v11, v37, v11
	v_max_i16 v0, v0, 0
	s_and_b32 s1, s0, vcc_lo
	v_bfe_i32 v18, v18, 0, 8
	v_bfe_i32 v10, v10, 0, 8
	v_bfe_i32 v11, v11, 0, 8
	v_and_b32_e32 v37, 0xffff, v0
	v_add_nc_u16 v0, v20, v21
	v_lshrrev_b32_e32 v20, 16, v27
	v_lshrrev_b32_e32 v21, 24, v27
	v_lshlrev_b32_e32 v27, 24, v74
	v_max_i16 v18, v18, 0
	v_bfe_i32 v0, v0, 0, 8
	v_add_nc_u16 v12, v20, v12
	v_add_nc_u16 v13, v21, v13
	v_lshl_or_b32 v21, v1, 8, v72
	v_bfe_i32 v19, v19, 0, 8
	v_max_i16 v20, v0, 0
	v_mul_lo_u32 v0, v3, s24
	v_bfe_i32 v12, v12, 0, 8
	v_or3_b32 v3, v21, v4, v27
	s_wait_alu 0xfffe
	v_cndmask_b32_e64 v4, 0x80000000, 0, s1
	v_cmp_gt_i32_e64 s1, s27, v71
	v_bfe_i32 v13, v13, 0, 8
	v_max_i16 v10, v10, 0
	v_max_i16 v11, v11, 0
	v_mad_co_u64_u32 v[0:1], null, v2, s25, v[0:1]
	s_and_b32 s0, s0, s1
	v_max_i16 v1, v12, 0
	v_max_i16 v2, v13, 0
	v_lshl_or_b32 v13, v54, 8, v17
	v_lshlrev_b32_e32 v17, 24, v73
	s_wait_alu 0xfffe
	v_cndmask_b32_e64 v21, 0x80000000, 0, s0
	v_add_nc_u32_e32 v12, s3, v0
	v_cmp_gt_i32_e64 s0, s26, v52
	v_add_nc_u32_e32 v4, v4, v0
	v_or3_b32 v5, v13, v5, v17
	v_lshl_or_b32 v17, v41, 8, v28
	v_add_nc_u32_e32 v13, v21, v12
	s_and_b32 s2, s0, s1
	s_clause 0x1
	buffer_store_b32 v3, v4, s[20:23], null offen
	buffer_store_b32 v5, v13, s[20:23], null offen
	v_cndmask_b32_e64 v5, 0x80000000, 0, s2
	v_cmp_gt_i32_e64 s2, s26, v35
	v_lshlrev_b32_e32 v21, 24, v44
	s_and_b32 s0, s0, vcc_lo
	v_add_nc_u32_e32 v3, s24, v12
	s_wait_alu 0xfffe
	v_cndmask_b32_e64 v13, 0x80000000, 0, s0
	s_and_b32 s0, s2, vcc_lo
	v_or3_b32 v4, v17, v7, v21
	v_add_nc_u32_e32 v0, s24, v0
	v_lshlrev_b32_e32 v7, 16, v34
	v_lshlrev_b32_e32 v12, 24, v53
	;; [unrolled: 1-line block ×4, first 2 shown]
	s_wait_alu 0xfffe
	v_cndmask_b32_e64 v22, 0x80000000, 0, s0
	v_add_nc_u32_e32 v5, v5, v3
	v_add_nc_u32_e32 v3, s24, v3
	s_and_b32 s0, s2, s1
	v_or3_b32 v6, v6, v7, v12
	v_add_nc_u32_e32 v7, v0, v13
	v_or3_b32 v8, v8, v17, v21
	v_add3_u32 v0, v22, s24, v0
	s_wait_alu 0xfffe
	v_cndmask_b32_e64 v17, 0x80000000, 0, s0
	v_cmp_gt_i32_e64 s0, s26, v40
	v_lshl_or_b32 v12, v49, 8, v29
	v_lshlrev_b32_e32 v13, 24, v55
	s_clause 0x2
	buffer_store_b32 v4, v5, s[20:23], null offen
	buffer_store_b32 v6, v7, s[20:23], null offen
	;; [unrolled: 1-line block ×3, first 2 shown]
	v_add_nc_u32_e32 v5, s24, v3
	s_and_b32 s2, s0, s1
	s_and_b32 s0, s0, vcc_lo
	v_or3_b32 v0, v12, v9, v13
	v_add_nc_u32_e32 v4, v3, v17
	v_lshl_or_b32 v6, v48, 8, v30
	v_lshlrev_b32_e32 v7, 16, v25
	v_lshlrev_b32_e32 v8, 24, v57
	s_wait_alu 0xfffe
	v_cndmask_b32_e64 v9, 0x80000000, 0, s2
	v_subrev_nc_u32_e32 v12, s3, v5
	v_lshl_or_b32 v13, v42, 8, v24
	v_lshlrev_b32_e32 v17, 16, v45
	v_lshlrev_b32_e32 v21, 24, v56
	v_cndmask_b32_e64 v22, 0x80000000, 0, s0
	v_cmp_gt_i32_e64 s0, s26, v77
	buffer_store_b32 v0, v4, s[20:23], null offen
	v_or3_b32 v0, v6, v7, v8
	v_add_nc_u32_e32 v4, v5, v9
	v_or3_b32 v6, v13, v17, v21
	v_add_nc_u32_e32 v7, v12, v22
	s_and_b32 s4, s0, vcc_lo
	s_and_b32 s0, s0, s1
	v_bfe_i32 v16, v16, 0, 8
	v_and_b32_e32 v18, 0xffff, v18
	v_max_i16 v19, v19, 0
	s_clause 0x1
	buffer_store_b32 v0, v4, s[20:23], null offen
	buffer_store_b32 v6, v7, s[20:23], null offen
	v_cndmask_b32_e64 v7, 0x80000000, 0, s0
	v_cmp_ge_i32_e64 s0, s26, v77
	v_and_b32_e32 v10, 0xffff, v10
	v_and_b32_e32 v11, 0xffff, v11
	v_max_i16 v33, v33, 0
	v_max_i16 v16, v16, 0
	v_lshl_or_b32 v8, v37, 8, v18
	v_lshlrev_b32_e32 v9, 16, v19
	v_lshlrev_b32_e32 v13, 24, v20
	s_and_b32 s0, s0, s1
	v_lshl_or_b32 v6, v11, 8, v10
	s_wait_alu 0xfffe
	v_cndmask_b32_e64 v11, 0x80000000, 0, s0
	v_cmp_gt_i32_e64 s0, s26, v68
	v_or3_b32 v0, v8, v9, v13
	v_lshlrev_b32_e32 v1, 16, v1
	v_lshlrev_b32_e32 v2, 24, v2
	v_lshl_or_b32 v8, v64, 8, v62
	v_lshlrev_b32_e32 v9, 16, v33
	v_lshlrev_b32_e32 v10, 24, v16
	s_lshl_b32 s2, s24, 6
	v_cndmask_b32_e64 v4, 0x80000000, 0, s4
	s_and_b32 s0, s0, vcc_lo
	s_wait_alu 0xfffe
	v_add_nc_u32_e32 v3, s2, v3
	v_or3_b32 v1, v6, v1, v2
	v_add3_u32 v2, v5, s2, v7
	v_or3_b32 v5, v8, v9, v10
	v_cndmask_b32_e64 v10, 0x80000000, 0, s0
	v_cmp_ge_i32_e64 s0, s26, v68
	v_add3_u32 v4, v4, s2, v12
	v_add_nc_u32_e32 v6, v3, v11
	v_subrev_nc_u32_e32 v3, s3, v3
	s_clause 0x2
	buffer_store_b32 v0, v4, s[20:23], null offen
	buffer_store_b32 v1, v2, s[20:23], null offen
	;; [unrolled: 1-line block ×3, first 2 shown]
	s_and_b32 s0, s0, vcc_lo
	v_add_nc_u32_e32 v1, v3, v10
	s_wait_alu 0xfffe
	v_cndmask_b32_e64 v6, 0x80000000, 0, s0
	v_cmp_gt_i32_e64 s0, s26, v58
	v_subrev_nc_u32_e32 v2, s24, v3
	v_lshl_or_b32 v3, v59, 8, v47
	v_lshlrev_b32_e32 v4, 16, v60
	v_lshlrev_b32_e32 v5, 24, v76
	v_max_i16 v36, v36, 0
	s_and_b32 s0, s0, s1
	v_max_i16 v32, v32, 0
	v_lshl_or_b32 v7, v15, 8, v65
	v_or3_b32 v3, v3, v4, v5
	v_add_nc_u32_e32 v4, s3, v2
	v_add_nc_u32_e32 v2, v2, v6
	s_wait_alu 0xfffe
	v_cndmask_b32_e64 v6, 0x80000000, 0, s0
	v_cmp_gt_i32_e64 s0, s26, v50
	v_lshlrev_b32_e32 v8, 16, v66
	v_lshlrev_b32_e32 v9, 24, v36
	v_bfe_i32 v46, v46, 0, 8
	v_cmp_ge_i32_e64 s2, s26, v58
	s_and_b32 s0, s0, vcc_lo
	v_and_b32_e32 v51, 0xffff, v51
	v_or3_b32 v0, v7, v8, v9
	v_lshl_or_b32 v7, v63, 8, v61
	v_lshlrev_b32_e32 v8, 16, v32
	v_lshlrev_b32_e32 v9, 24, v70
	v_and_b32_e32 v26, 0xffff, v26
	v_and_b32_e32 v31, 0xffff, v31
	v_max_i16 v46, v46, 0
	s_wait_alu 0xfffe
	v_cndmask_b32_e64 v11, 0x80000000, 0, s0
	s_and_b32 s0, s2, s1
	v_or3_b32 v5, v7, v8, v9
	v_subrev_nc_u32_e32 v7, s24, v4
	v_lshl_or_b32 v8, v67, 8, v51
	v_lshlrev_b32_e32 v9, 16, v14
	v_lshlrev_b32_e32 v10, 24, v69
	s_wait_alu 0xfffe
	v_cndmask_b32_e64 v12, 0x80000000, 0, s0
	v_lshl_or_b32 v13, v31, 8, v26
	v_lshlrev_b32_e32 v14, 16, v46
	v_lshlrev_b32_e32 v15, 24, v75
	v_subrev_nc_u32_e32 v11, s3, v11
	v_add_nc_u32_e32 v4, v4, v6
	v_or3_b32 v6, v8, v9, v10
	v_add_nc_u32_e32 v8, v7, v12
	v_or3_b32 v9, v13, v14, v15
	v_add_nc_u32_e32 v7, v11, v7
	s_clause 0x4
	buffer_store_b32 v0, v1, s[20:23], null offen
	buffer_store_b32 v3, v2, s[20:23], null offen
	;; [unrolled: 1-line block ×5, first 2 shown]
	s_nop 0
	s_sendmsg sendmsg(MSG_DEALLOC_VGPRS)
	s_endpgm
	.section	.rodata,"a",@progbits
	.p2align	6, 0x0
	.amdhsa_kernel _ZN2ck16tensor_operation6device12_GLOBAL__N_137kernel_grouped_conv_fwd_dl_multiple_dINS_32GridwiseGemmDlMultipleD_km_kn_mnILi256EaiNS_5TupleIJaEEEaNS0_12element_wise11PassThroughES8_NS7_7AddReluELNS_25InMemoryDataOperationEnumE0ENS_16TensorDescriptorINS5_IJNS_5EmbedINS5_IJiiiiEEESD_Lb0EEENS_11PassThroughIiEENS_3PadIiiiLb0EEESI_SG_SG_NSC_INS5_IJiiEEESJ_Lb0EEESK_SG_NS_23Merge_v2_magic_divisionINS5_IJiiiEEEEESN_NS_8RightPadIiiLb0EEESP_NS_7UnMergeISJ_Lb0EEESG_EEENS5_IJNS_8SequenceIJLi0EEEENST_IJLi1EEEENST_IJLi2EEEENST_IJLi3EEEENST_IJLi4EEEENST_IJLi5EEEENST_IJLi6EEEENST_IJLi7EEEENST_IJLi8EEEENST_IJLi9ELi11ELi13EEEENST_IJLi10ELi12ELi14EEEENST_IJLi15EEEENST_IJLi16EEEENST_IJLi18EEEENST_IJLi17EEEEEEENS5_IJNST_IJLi1ELi2ELi3ELi4EEEESZ_S10_S11_S12_NST_IJLi9EEEENST_IJLi10ELi11EEEENST_IJLi12ELi13EEEENST_IJLi14EEEES15_S16_S18_S17_NST_IJLi19ELi20EEEENST_IJLi21EEEEEEENST_IJLi19ELi21ELi20EEEElEENSB_INS5_IJSR_SP_SP_SR_SG_EEENS5_IJSU_SV_SW_SY_SX_EEENS5_IJNST_IJLi1ELi2EEEESX_SY_NST_IJLi5ELi6EEEES11_EEENST_IJLi5ELi7ELi6EEEElEENSB_INS5_IJSK_SP_SP_EEENS5_IJSU_SV_SW_EEENS5_IJS1M_SX_SY_EEENST_IJLi3ELi4EEEElEELi128ELi128ELi16ELi4ELi4ELi4ELi1ENST_IJLi8ELi2EEEES1W_NST_IJLi8ELi1ELi1ELi4EEEENST_IJLi2ELi1ELi128ELi1EEEENST_IJLi1ELi2ELi0ELi3EEEES1Z_NST_IJLi4ELi1ELi1ELi4EEEES1Z_NST_IJLi1ELi1ELi1ELi4EEEES1X_S1Y_S1Z_S1Z_S20_S1Z_S21_NST_IJLi0ELi1ELi2ELi3ELi4ELi5EEEELi5ELi4EEEaNS5_IJPKaEEEaS8_S8_S9_NSB_INS5_IJSE_SG_SI_SI_SG_SG_SK_SK_SG_SN_SN_SP_SP_SR_SG_SG_NSQ_INS5_IJiNS_17integral_constantIiLi128EEEEEELb0EEENSF_INS27_IiLi4EEEEEEEENS5_IJSU_SV_SW_SX_SY_SZ_S10_S11_S12_S13_S14_S15_S16_S17_S18_NST_IJLi19EEEES1G_NST_IJLi20EEEEEEENS5_IJS1A_SZ_S10_S11_S12_S1B_S1C_S1D_S1E_S15_S16_S18_S17_S1F_S1G_NST_IJLi22EEEENST_IJLi23ELi24EEEENST_IJLi25EEEEEEENST_IJLi22ELi23ELi24ELi25EEEElEENSB_INS5_IJSR_SP_SP_SR_SG_SG_S2A_S2C_EEENS5_IJSU_SV_SW_SY_SX_SZ_S11_S10_EEENS5_IJS1M_SX_SY_S1N_S11_S12_NST_IJLi9ELi10EEEENST_IJLi11EEEEEEENST_IJLi8ELi9ELi10ELi11EEEElEENS5_IJNSB_INS5_IJSK_SP_SP_NSQ_INS5_IJiNS27_IiLi2EEENS27_IiLi64EEEEEELb0EEES2X_EEENS5_IJSU_SV_SW_SX_SY_EEENS5_IJS1M_SX_SY_NST_IJLi5ELi6ELi7EEEENST_IJLi8ELi9ELi10EEEEEEENST_IJLi5ELi6ELi7ELi8ELi9ELi10EEEElEEEEES34_NS_31BlockToCTileMap_M00_N00_M01_N01ILi128ELi128ES1V_Lb0EEENS1_30ComputePtrOffsetOfStridedBatchILi1ELi1ELi1EvEELb0ELb0EEEvPKT0_S3C_T1_PT2_T3_T4_T5_iT6_T7_T8_T9_T10_T11_
		.amdhsa_group_segment_fixed_size 32768
		.amdhsa_private_segment_fixed_size 0
		.amdhsa_kernarg_size 968
		.amdhsa_user_sgpr_count 2
		.amdhsa_user_sgpr_dispatch_ptr 0
		.amdhsa_user_sgpr_queue_ptr 0
		.amdhsa_user_sgpr_kernarg_segment_ptr 1
		.amdhsa_user_sgpr_dispatch_id 0
		.amdhsa_user_sgpr_private_segment_size 0
		.amdhsa_wavefront_size32 1
		.amdhsa_uses_dynamic_stack 0
		.amdhsa_enable_private_segment 0
		.amdhsa_system_sgpr_workgroup_id_x 1
		.amdhsa_system_sgpr_workgroup_id_y 0
		.amdhsa_system_sgpr_workgroup_id_z 0
		.amdhsa_system_sgpr_workgroup_info 0
		.amdhsa_system_vgpr_workitem_id 0
		.amdhsa_next_free_vgpr 169
		.amdhsa_next_free_sgpr 67
		.amdhsa_reserve_vcc 1
		.amdhsa_float_round_mode_32 0
		.amdhsa_float_round_mode_16_64 0
		.amdhsa_float_denorm_mode_32 3
		.amdhsa_float_denorm_mode_16_64 3
		.amdhsa_fp16_overflow 0
		.amdhsa_workgroup_processor_mode 1
		.amdhsa_memory_ordered 1
		.amdhsa_forward_progress 1
		.amdhsa_inst_pref_size 114
		.amdhsa_round_robin_scheduling 0
		.amdhsa_exception_fp_ieee_invalid_op 0
		.amdhsa_exception_fp_denorm_src 0
		.amdhsa_exception_fp_ieee_div_zero 0
		.amdhsa_exception_fp_ieee_overflow 0
		.amdhsa_exception_fp_ieee_underflow 0
		.amdhsa_exception_fp_ieee_inexact 0
		.amdhsa_exception_int_div_zero 0
	.end_amdhsa_kernel
	.section	.text._ZN2ck16tensor_operation6device12_GLOBAL__N_137kernel_grouped_conv_fwd_dl_multiple_dINS_32GridwiseGemmDlMultipleD_km_kn_mnILi256EaiNS_5TupleIJaEEEaNS0_12element_wise11PassThroughES8_NS7_7AddReluELNS_25InMemoryDataOperationEnumE0ENS_16TensorDescriptorINS5_IJNS_5EmbedINS5_IJiiiiEEESD_Lb0EEENS_11PassThroughIiEENS_3PadIiiiLb0EEESI_SG_SG_NSC_INS5_IJiiEEESJ_Lb0EEESK_SG_NS_23Merge_v2_magic_divisionINS5_IJiiiEEEEESN_NS_8RightPadIiiLb0EEESP_NS_7UnMergeISJ_Lb0EEESG_EEENS5_IJNS_8SequenceIJLi0EEEENST_IJLi1EEEENST_IJLi2EEEENST_IJLi3EEEENST_IJLi4EEEENST_IJLi5EEEENST_IJLi6EEEENST_IJLi7EEEENST_IJLi8EEEENST_IJLi9ELi11ELi13EEEENST_IJLi10ELi12ELi14EEEENST_IJLi15EEEENST_IJLi16EEEENST_IJLi18EEEENST_IJLi17EEEEEEENS5_IJNST_IJLi1ELi2ELi3ELi4EEEESZ_S10_S11_S12_NST_IJLi9EEEENST_IJLi10ELi11EEEENST_IJLi12ELi13EEEENST_IJLi14EEEES15_S16_S18_S17_NST_IJLi19ELi20EEEENST_IJLi21EEEEEEENST_IJLi19ELi21ELi20EEEElEENSB_INS5_IJSR_SP_SP_SR_SG_EEENS5_IJSU_SV_SW_SY_SX_EEENS5_IJNST_IJLi1ELi2EEEESX_SY_NST_IJLi5ELi6EEEES11_EEENST_IJLi5ELi7ELi6EEEElEENSB_INS5_IJSK_SP_SP_EEENS5_IJSU_SV_SW_EEENS5_IJS1M_SX_SY_EEENST_IJLi3ELi4EEEElEELi128ELi128ELi16ELi4ELi4ELi4ELi1ENST_IJLi8ELi2EEEES1W_NST_IJLi8ELi1ELi1ELi4EEEENST_IJLi2ELi1ELi128ELi1EEEENST_IJLi1ELi2ELi0ELi3EEEES1Z_NST_IJLi4ELi1ELi1ELi4EEEES1Z_NST_IJLi1ELi1ELi1ELi4EEEES1X_S1Y_S1Z_S1Z_S20_S1Z_S21_NST_IJLi0ELi1ELi2ELi3ELi4ELi5EEEELi5ELi4EEEaNS5_IJPKaEEEaS8_S8_S9_NSB_INS5_IJSE_SG_SI_SI_SG_SG_SK_SK_SG_SN_SN_SP_SP_SR_SG_SG_NSQ_INS5_IJiNS_17integral_constantIiLi128EEEEEELb0EEENSF_INS27_IiLi4EEEEEEEENS5_IJSU_SV_SW_SX_SY_SZ_S10_S11_S12_S13_S14_S15_S16_S17_S18_NST_IJLi19EEEES1G_NST_IJLi20EEEEEEENS5_IJS1A_SZ_S10_S11_S12_S1B_S1C_S1D_S1E_S15_S16_S18_S17_S1F_S1G_NST_IJLi22EEEENST_IJLi23ELi24EEEENST_IJLi25EEEEEEENST_IJLi22ELi23ELi24ELi25EEEElEENSB_INS5_IJSR_SP_SP_SR_SG_SG_S2A_S2C_EEENS5_IJSU_SV_SW_SY_SX_SZ_S11_S10_EEENS5_IJS1M_SX_SY_S1N_S11_S12_NST_IJLi9ELi10EEEENST_IJLi11EEEEEEENST_IJLi8ELi9ELi10ELi11EEEElEENS5_IJNSB_INS5_IJSK_SP_SP_NSQ_INS5_IJiNS27_IiLi2EEENS27_IiLi64EEEEEELb0EEES2X_EEENS5_IJSU_SV_SW_SX_SY_EEENS5_IJS1M_SX_SY_NST_IJLi5ELi6ELi7EEEENST_IJLi8ELi9ELi10EEEEEEENST_IJLi5ELi6ELi7ELi8ELi9ELi10EEEElEEEEES34_NS_31BlockToCTileMap_M00_N00_M01_N01ILi128ELi128ES1V_Lb0EEENS1_30ComputePtrOffsetOfStridedBatchILi1ELi1ELi1EvEELb0ELb0EEEvPKT0_S3C_T1_PT2_T3_T4_T5_iT6_T7_T8_T9_T10_T11_,"axG",@progbits,_ZN2ck16tensor_operation6device12_GLOBAL__N_137kernel_grouped_conv_fwd_dl_multiple_dINS_32GridwiseGemmDlMultipleD_km_kn_mnILi256EaiNS_5TupleIJaEEEaNS0_12element_wise11PassThroughES8_NS7_7AddReluELNS_25InMemoryDataOperationEnumE0ENS_16TensorDescriptorINS5_IJNS_5EmbedINS5_IJiiiiEEESD_Lb0EEENS_11PassThroughIiEENS_3PadIiiiLb0EEESI_SG_SG_NSC_INS5_IJiiEEESJ_Lb0EEESK_SG_NS_23Merge_v2_magic_divisionINS5_IJiiiEEEEESN_NS_8RightPadIiiLb0EEESP_NS_7UnMergeISJ_Lb0EEESG_EEENS5_IJNS_8SequenceIJLi0EEEENST_IJLi1EEEENST_IJLi2EEEENST_IJLi3EEEENST_IJLi4EEEENST_IJLi5EEEENST_IJLi6EEEENST_IJLi7EEEENST_IJLi8EEEENST_IJLi9ELi11ELi13EEEENST_IJLi10ELi12ELi14EEEENST_IJLi15EEEENST_IJLi16EEEENST_IJLi18EEEENST_IJLi17EEEEEEENS5_IJNST_IJLi1ELi2ELi3ELi4EEEESZ_S10_S11_S12_NST_IJLi9EEEENST_IJLi10ELi11EEEENST_IJLi12ELi13EEEENST_IJLi14EEEES15_S16_S18_S17_NST_IJLi19ELi20EEEENST_IJLi21EEEEEEENST_IJLi19ELi21ELi20EEEElEENSB_INS5_IJSR_SP_SP_SR_SG_EEENS5_IJSU_SV_SW_SY_SX_EEENS5_IJNST_IJLi1ELi2EEEESX_SY_NST_IJLi5ELi6EEEES11_EEENST_IJLi5ELi7ELi6EEEElEENSB_INS5_IJSK_SP_SP_EEENS5_IJSU_SV_SW_EEENS5_IJS1M_SX_SY_EEENST_IJLi3ELi4EEEElEELi128ELi128ELi16ELi4ELi4ELi4ELi1ENST_IJLi8ELi2EEEES1W_NST_IJLi8ELi1ELi1ELi4EEEENST_IJLi2ELi1ELi128ELi1EEEENST_IJLi1ELi2ELi0ELi3EEEES1Z_NST_IJLi4ELi1ELi1ELi4EEEES1Z_NST_IJLi1ELi1ELi1ELi4EEEES1X_S1Y_S1Z_S1Z_S20_S1Z_S21_NST_IJLi0ELi1ELi2ELi3ELi4ELi5EEEELi5ELi4EEEaNS5_IJPKaEEEaS8_S8_S9_NSB_INS5_IJSE_SG_SI_SI_SG_SG_SK_SK_SG_SN_SN_SP_SP_SR_SG_SG_NSQ_INS5_IJiNS_17integral_constantIiLi128EEEEEELb0EEENSF_INS27_IiLi4EEEEEEEENS5_IJSU_SV_SW_SX_SY_SZ_S10_S11_S12_S13_S14_S15_S16_S17_S18_NST_IJLi19EEEES1G_NST_IJLi20EEEEEEENS5_IJS1A_SZ_S10_S11_S12_S1B_S1C_S1D_S1E_S15_S16_S18_S17_S1F_S1G_NST_IJLi22EEEENST_IJLi23ELi24EEEENST_IJLi25EEEEEEENST_IJLi22ELi23ELi24ELi25EEEElEENSB_INS5_IJSR_SP_SP_SR_SG_SG_S2A_S2C_EEENS5_IJSU_SV_SW_SY_SX_SZ_S11_S10_EEENS5_IJS1M_SX_SY_S1N_S11_S12_NST_IJLi9ELi10EEEENST_IJLi11EEEEEEENST_IJLi8ELi9ELi10ELi11EEEElEENS5_IJNSB_INS5_IJSK_SP_SP_NSQ_INS5_IJiNS27_IiLi2EEENS27_IiLi64EEEEEELb0EEES2X_EEENS5_IJSU_SV_SW_SX_SY_EEENS5_IJS1M_SX_SY_NST_IJLi5ELi6ELi7EEEENST_IJLi8ELi9ELi10EEEEEEENST_IJLi5ELi6ELi7ELi8ELi9ELi10EEEElEEEEES34_NS_31BlockToCTileMap_M00_N00_M01_N01ILi128ELi128ES1V_Lb0EEENS1_30ComputePtrOffsetOfStridedBatchILi1ELi1ELi1EvEELb0ELb0EEEvPKT0_S3C_T1_PT2_T3_T4_T5_iT6_T7_T8_T9_T10_T11_,comdat
.Lfunc_end8:
	.size	_ZN2ck16tensor_operation6device12_GLOBAL__N_137kernel_grouped_conv_fwd_dl_multiple_dINS_32GridwiseGemmDlMultipleD_km_kn_mnILi256EaiNS_5TupleIJaEEEaNS0_12element_wise11PassThroughES8_NS7_7AddReluELNS_25InMemoryDataOperationEnumE0ENS_16TensorDescriptorINS5_IJNS_5EmbedINS5_IJiiiiEEESD_Lb0EEENS_11PassThroughIiEENS_3PadIiiiLb0EEESI_SG_SG_NSC_INS5_IJiiEEESJ_Lb0EEESK_SG_NS_23Merge_v2_magic_divisionINS5_IJiiiEEEEESN_NS_8RightPadIiiLb0EEESP_NS_7UnMergeISJ_Lb0EEESG_EEENS5_IJNS_8SequenceIJLi0EEEENST_IJLi1EEEENST_IJLi2EEEENST_IJLi3EEEENST_IJLi4EEEENST_IJLi5EEEENST_IJLi6EEEENST_IJLi7EEEENST_IJLi8EEEENST_IJLi9ELi11ELi13EEEENST_IJLi10ELi12ELi14EEEENST_IJLi15EEEENST_IJLi16EEEENST_IJLi18EEEENST_IJLi17EEEEEEENS5_IJNST_IJLi1ELi2ELi3ELi4EEEESZ_S10_S11_S12_NST_IJLi9EEEENST_IJLi10ELi11EEEENST_IJLi12ELi13EEEENST_IJLi14EEEES15_S16_S18_S17_NST_IJLi19ELi20EEEENST_IJLi21EEEEEEENST_IJLi19ELi21ELi20EEEElEENSB_INS5_IJSR_SP_SP_SR_SG_EEENS5_IJSU_SV_SW_SY_SX_EEENS5_IJNST_IJLi1ELi2EEEESX_SY_NST_IJLi5ELi6EEEES11_EEENST_IJLi5ELi7ELi6EEEElEENSB_INS5_IJSK_SP_SP_EEENS5_IJSU_SV_SW_EEENS5_IJS1M_SX_SY_EEENST_IJLi3ELi4EEEElEELi128ELi128ELi16ELi4ELi4ELi4ELi1ENST_IJLi8ELi2EEEES1W_NST_IJLi8ELi1ELi1ELi4EEEENST_IJLi2ELi1ELi128ELi1EEEENST_IJLi1ELi2ELi0ELi3EEEES1Z_NST_IJLi4ELi1ELi1ELi4EEEES1Z_NST_IJLi1ELi1ELi1ELi4EEEES1X_S1Y_S1Z_S1Z_S20_S1Z_S21_NST_IJLi0ELi1ELi2ELi3ELi4ELi5EEEELi5ELi4EEEaNS5_IJPKaEEEaS8_S8_S9_NSB_INS5_IJSE_SG_SI_SI_SG_SG_SK_SK_SG_SN_SN_SP_SP_SR_SG_SG_NSQ_INS5_IJiNS_17integral_constantIiLi128EEEEEELb0EEENSF_INS27_IiLi4EEEEEEEENS5_IJSU_SV_SW_SX_SY_SZ_S10_S11_S12_S13_S14_S15_S16_S17_S18_NST_IJLi19EEEES1G_NST_IJLi20EEEEEEENS5_IJS1A_SZ_S10_S11_S12_S1B_S1C_S1D_S1E_S15_S16_S18_S17_S1F_S1G_NST_IJLi22EEEENST_IJLi23ELi24EEEENST_IJLi25EEEEEEENST_IJLi22ELi23ELi24ELi25EEEElEENSB_INS5_IJSR_SP_SP_SR_SG_SG_S2A_S2C_EEENS5_IJSU_SV_SW_SY_SX_SZ_S11_S10_EEENS5_IJS1M_SX_SY_S1N_S11_S12_NST_IJLi9ELi10EEEENST_IJLi11EEEEEEENST_IJLi8ELi9ELi10ELi11EEEElEENS5_IJNSB_INS5_IJSK_SP_SP_NSQ_INS5_IJiNS27_IiLi2EEENS27_IiLi64EEEEEELb0EEES2X_EEENS5_IJSU_SV_SW_SX_SY_EEENS5_IJS1M_SX_SY_NST_IJLi5ELi6ELi7EEEENST_IJLi8ELi9ELi10EEEEEEENST_IJLi5ELi6ELi7ELi8ELi9ELi10EEEElEEEEES34_NS_31BlockToCTileMap_M00_N00_M01_N01ILi128ELi128ES1V_Lb0EEENS1_30ComputePtrOffsetOfStridedBatchILi1ELi1ELi1EvEELb0ELb0EEEvPKT0_S3C_T1_PT2_T3_T4_T5_iT6_T7_T8_T9_T10_T11_, .Lfunc_end8-_ZN2ck16tensor_operation6device12_GLOBAL__N_137kernel_grouped_conv_fwd_dl_multiple_dINS_32GridwiseGemmDlMultipleD_km_kn_mnILi256EaiNS_5TupleIJaEEEaNS0_12element_wise11PassThroughES8_NS7_7AddReluELNS_25InMemoryDataOperationEnumE0ENS_16TensorDescriptorINS5_IJNS_5EmbedINS5_IJiiiiEEESD_Lb0EEENS_11PassThroughIiEENS_3PadIiiiLb0EEESI_SG_SG_NSC_INS5_IJiiEEESJ_Lb0EEESK_SG_NS_23Merge_v2_magic_divisionINS5_IJiiiEEEEESN_NS_8RightPadIiiLb0EEESP_NS_7UnMergeISJ_Lb0EEESG_EEENS5_IJNS_8SequenceIJLi0EEEENST_IJLi1EEEENST_IJLi2EEEENST_IJLi3EEEENST_IJLi4EEEENST_IJLi5EEEENST_IJLi6EEEENST_IJLi7EEEENST_IJLi8EEEENST_IJLi9ELi11ELi13EEEENST_IJLi10ELi12ELi14EEEENST_IJLi15EEEENST_IJLi16EEEENST_IJLi18EEEENST_IJLi17EEEEEEENS5_IJNST_IJLi1ELi2ELi3ELi4EEEESZ_S10_S11_S12_NST_IJLi9EEEENST_IJLi10ELi11EEEENST_IJLi12ELi13EEEENST_IJLi14EEEES15_S16_S18_S17_NST_IJLi19ELi20EEEENST_IJLi21EEEEEEENST_IJLi19ELi21ELi20EEEElEENSB_INS5_IJSR_SP_SP_SR_SG_EEENS5_IJSU_SV_SW_SY_SX_EEENS5_IJNST_IJLi1ELi2EEEESX_SY_NST_IJLi5ELi6EEEES11_EEENST_IJLi5ELi7ELi6EEEElEENSB_INS5_IJSK_SP_SP_EEENS5_IJSU_SV_SW_EEENS5_IJS1M_SX_SY_EEENST_IJLi3ELi4EEEElEELi128ELi128ELi16ELi4ELi4ELi4ELi1ENST_IJLi8ELi2EEEES1W_NST_IJLi8ELi1ELi1ELi4EEEENST_IJLi2ELi1ELi128ELi1EEEENST_IJLi1ELi2ELi0ELi3EEEES1Z_NST_IJLi4ELi1ELi1ELi4EEEES1Z_NST_IJLi1ELi1ELi1ELi4EEEES1X_S1Y_S1Z_S1Z_S20_S1Z_S21_NST_IJLi0ELi1ELi2ELi3ELi4ELi5EEEELi5ELi4EEEaNS5_IJPKaEEEaS8_S8_S9_NSB_INS5_IJSE_SG_SI_SI_SG_SG_SK_SK_SG_SN_SN_SP_SP_SR_SG_SG_NSQ_INS5_IJiNS_17integral_constantIiLi128EEEEEELb0EEENSF_INS27_IiLi4EEEEEEEENS5_IJSU_SV_SW_SX_SY_SZ_S10_S11_S12_S13_S14_S15_S16_S17_S18_NST_IJLi19EEEES1G_NST_IJLi20EEEEEEENS5_IJS1A_SZ_S10_S11_S12_S1B_S1C_S1D_S1E_S15_S16_S18_S17_S1F_S1G_NST_IJLi22EEEENST_IJLi23ELi24EEEENST_IJLi25EEEEEEENST_IJLi22ELi23ELi24ELi25EEEElEENSB_INS5_IJSR_SP_SP_SR_SG_SG_S2A_S2C_EEENS5_IJSU_SV_SW_SY_SX_SZ_S11_S10_EEENS5_IJS1M_SX_SY_S1N_S11_S12_NST_IJLi9ELi10EEEENST_IJLi11EEEEEEENST_IJLi8ELi9ELi10ELi11EEEElEENS5_IJNSB_INS5_IJSK_SP_SP_NSQ_INS5_IJiNS27_IiLi2EEENS27_IiLi64EEEEEELb0EEES2X_EEENS5_IJSU_SV_SW_SX_SY_EEENS5_IJS1M_SX_SY_NST_IJLi5ELi6ELi7EEEENST_IJLi8ELi9ELi10EEEEEEENST_IJLi5ELi6ELi7ELi8ELi9ELi10EEEElEEEEES34_NS_31BlockToCTileMap_M00_N00_M01_N01ILi128ELi128ES1V_Lb0EEENS1_30ComputePtrOffsetOfStridedBatchILi1ELi1ELi1EvEELb0ELb0EEEvPKT0_S3C_T1_PT2_T3_T4_T5_iT6_T7_T8_T9_T10_T11_
                                        ; -- End function
	.set _ZN2ck16tensor_operation6device12_GLOBAL__N_137kernel_grouped_conv_fwd_dl_multiple_dINS_32GridwiseGemmDlMultipleD_km_kn_mnILi256EaiNS_5TupleIJaEEEaNS0_12element_wise11PassThroughES8_NS7_7AddReluELNS_25InMemoryDataOperationEnumE0ENS_16TensorDescriptorINS5_IJNS_5EmbedINS5_IJiiiiEEESD_Lb0EEENS_11PassThroughIiEENS_3PadIiiiLb0EEESI_SG_SG_NSC_INS5_IJiiEEESJ_Lb0EEESK_SG_NS_23Merge_v2_magic_divisionINS5_IJiiiEEEEESN_NS_8RightPadIiiLb0EEESP_NS_7UnMergeISJ_Lb0EEESG_EEENS5_IJNS_8SequenceIJLi0EEEENST_IJLi1EEEENST_IJLi2EEEENST_IJLi3EEEENST_IJLi4EEEENST_IJLi5EEEENST_IJLi6EEEENST_IJLi7EEEENST_IJLi8EEEENST_IJLi9ELi11ELi13EEEENST_IJLi10ELi12ELi14EEEENST_IJLi15EEEENST_IJLi16EEEENST_IJLi18EEEENST_IJLi17EEEEEEENS5_IJNST_IJLi1ELi2ELi3ELi4EEEESZ_S10_S11_S12_NST_IJLi9EEEENST_IJLi10ELi11EEEENST_IJLi12ELi13EEEENST_IJLi14EEEES15_S16_S18_S17_NST_IJLi19ELi20EEEENST_IJLi21EEEEEEENST_IJLi19ELi21ELi20EEEElEENSB_INS5_IJSR_SP_SP_SR_SG_EEENS5_IJSU_SV_SW_SY_SX_EEENS5_IJNST_IJLi1ELi2EEEESX_SY_NST_IJLi5ELi6EEEES11_EEENST_IJLi5ELi7ELi6EEEElEENSB_INS5_IJSK_SP_SP_EEENS5_IJSU_SV_SW_EEENS5_IJS1M_SX_SY_EEENST_IJLi3ELi4EEEElEELi128ELi128ELi16ELi4ELi4ELi4ELi1ENST_IJLi8ELi2EEEES1W_NST_IJLi8ELi1ELi1ELi4EEEENST_IJLi2ELi1ELi128ELi1EEEENST_IJLi1ELi2ELi0ELi3EEEES1Z_NST_IJLi4ELi1ELi1ELi4EEEES1Z_NST_IJLi1ELi1ELi1ELi4EEEES1X_S1Y_S1Z_S1Z_S20_S1Z_S21_NST_IJLi0ELi1ELi2ELi3ELi4ELi5EEEELi5ELi4EEEaNS5_IJPKaEEEaS8_S8_S9_NSB_INS5_IJSE_SG_SI_SI_SG_SG_SK_SK_SG_SN_SN_SP_SP_SR_SG_SG_NSQ_INS5_IJiNS_17integral_constantIiLi128EEEEEELb0EEENSF_INS27_IiLi4EEEEEEEENS5_IJSU_SV_SW_SX_SY_SZ_S10_S11_S12_S13_S14_S15_S16_S17_S18_NST_IJLi19EEEES1G_NST_IJLi20EEEEEEENS5_IJS1A_SZ_S10_S11_S12_S1B_S1C_S1D_S1E_S15_S16_S18_S17_S1F_S1G_NST_IJLi22EEEENST_IJLi23ELi24EEEENST_IJLi25EEEEEEENST_IJLi22ELi23ELi24ELi25EEEElEENSB_INS5_IJSR_SP_SP_SR_SG_SG_S2A_S2C_EEENS5_IJSU_SV_SW_SY_SX_SZ_S11_S10_EEENS5_IJS1M_SX_SY_S1N_S11_S12_NST_IJLi9ELi10EEEENST_IJLi11EEEEEEENST_IJLi8ELi9ELi10ELi11EEEElEENS5_IJNSB_INS5_IJSK_SP_SP_NSQ_INS5_IJiNS27_IiLi2EEENS27_IiLi64EEEEEELb0EEES2X_EEENS5_IJSU_SV_SW_SX_SY_EEENS5_IJS1M_SX_SY_NST_IJLi5ELi6ELi7EEEENST_IJLi8ELi9ELi10EEEEEEENST_IJLi5ELi6ELi7ELi8ELi9ELi10EEEElEEEEES34_NS_31BlockToCTileMap_M00_N00_M01_N01ILi128ELi128ES1V_Lb0EEENS1_30ComputePtrOffsetOfStridedBatchILi1ELi1ELi1EvEELb0ELb0EEEvPKT0_S3C_T1_PT2_T3_T4_T5_iT6_T7_T8_T9_T10_T11_.num_vgpr, 141
	.set _ZN2ck16tensor_operation6device12_GLOBAL__N_137kernel_grouped_conv_fwd_dl_multiple_dINS_32GridwiseGemmDlMultipleD_km_kn_mnILi256EaiNS_5TupleIJaEEEaNS0_12element_wise11PassThroughES8_NS7_7AddReluELNS_25InMemoryDataOperationEnumE0ENS_16TensorDescriptorINS5_IJNS_5EmbedINS5_IJiiiiEEESD_Lb0EEENS_11PassThroughIiEENS_3PadIiiiLb0EEESI_SG_SG_NSC_INS5_IJiiEEESJ_Lb0EEESK_SG_NS_23Merge_v2_magic_divisionINS5_IJiiiEEEEESN_NS_8RightPadIiiLb0EEESP_NS_7UnMergeISJ_Lb0EEESG_EEENS5_IJNS_8SequenceIJLi0EEEENST_IJLi1EEEENST_IJLi2EEEENST_IJLi3EEEENST_IJLi4EEEENST_IJLi5EEEENST_IJLi6EEEENST_IJLi7EEEENST_IJLi8EEEENST_IJLi9ELi11ELi13EEEENST_IJLi10ELi12ELi14EEEENST_IJLi15EEEENST_IJLi16EEEENST_IJLi18EEEENST_IJLi17EEEEEEENS5_IJNST_IJLi1ELi2ELi3ELi4EEEESZ_S10_S11_S12_NST_IJLi9EEEENST_IJLi10ELi11EEEENST_IJLi12ELi13EEEENST_IJLi14EEEES15_S16_S18_S17_NST_IJLi19ELi20EEEENST_IJLi21EEEEEEENST_IJLi19ELi21ELi20EEEElEENSB_INS5_IJSR_SP_SP_SR_SG_EEENS5_IJSU_SV_SW_SY_SX_EEENS5_IJNST_IJLi1ELi2EEEESX_SY_NST_IJLi5ELi6EEEES11_EEENST_IJLi5ELi7ELi6EEEElEENSB_INS5_IJSK_SP_SP_EEENS5_IJSU_SV_SW_EEENS5_IJS1M_SX_SY_EEENST_IJLi3ELi4EEEElEELi128ELi128ELi16ELi4ELi4ELi4ELi1ENST_IJLi8ELi2EEEES1W_NST_IJLi8ELi1ELi1ELi4EEEENST_IJLi2ELi1ELi128ELi1EEEENST_IJLi1ELi2ELi0ELi3EEEES1Z_NST_IJLi4ELi1ELi1ELi4EEEES1Z_NST_IJLi1ELi1ELi1ELi4EEEES1X_S1Y_S1Z_S1Z_S20_S1Z_S21_NST_IJLi0ELi1ELi2ELi3ELi4ELi5EEEELi5ELi4EEEaNS5_IJPKaEEEaS8_S8_S9_NSB_INS5_IJSE_SG_SI_SI_SG_SG_SK_SK_SG_SN_SN_SP_SP_SR_SG_SG_NSQ_INS5_IJiNS_17integral_constantIiLi128EEEEEELb0EEENSF_INS27_IiLi4EEEEEEEENS5_IJSU_SV_SW_SX_SY_SZ_S10_S11_S12_S13_S14_S15_S16_S17_S18_NST_IJLi19EEEES1G_NST_IJLi20EEEEEEENS5_IJS1A_SZ_S10_S11_S12_S1B_S1C_S1D_S1E_S15_S16_S18_S17_S1F_S1G_NST_IJLi22EEEENST_IJLi23ELi24EEEENST_IJLi25EEEEEEENST_IJLi22ELi23ELi24ELi25EEEElEENSB_INS5_IJSR_SP_SP_SR_SG_SG_S2A_S2C_EEENS5_IJSU_SV_SW_SY_SX_SZ_S11_S10_EEENS5_IJS1M_SX_SY_S1N_S11_S12_NST_IJLi9ELi10EEEENST_IJLi11EEEEEEENST_IJLi8ELi9ELi10ELi11EEEElEENS5_IJNSB_INS5_IJSK_SP_SP_NSQ_INS5_IJiNS27_IiLi2EEENS27_IiLi64EEEEEELb0EEES2X_EEENS5_IJSU_SV_SW_SX_SY_EEENS5_IJS1M_SX_SY_NST_IJLi5ELi6ELi7EEEENST_IJLi8ELi9ELi10EEEEEEENST_IJLi5ELi6ELi7ELi8ELi9ELi10EEEElEEEEES34_NS_31BlockToCTileMap_M00_N00_M01_N01ILi128ELi128ES1V_Lb0EEENS1_30ComputePtrOffsetOfStridedBatchILi1ELi1ELi1EvEELb0ELb0EEEvPKT0_S3C_T1_PT2_T3_T4_T5_iT6_T7_T8_T9_T10_T11_.num_agpr, 0
	.set _ZN2ck16tensor_operation6device12_GLOBAL__N_137kernel_grouped_conv_fwd_dl_multiple_dINS_32GridwiseGemmDlMultipleD_km_kn_mnILi256EaiNS_5TupleIJaEEEaNS0_12element_wise11PassThroughES8_NS7_7AddReluELNS_25InMemoryDataOperationEnumE0ENS_16TensorDescriptorINS5_IJNS_5EmbedINS5_IJiiiiEEESD_Lb0EEENS_11PassThroughIiEENS_3PadIiiiLb0EEESI_SG_SG_NSC_INS5_IJiiEEESJ_Lb0EEESK_SG_NS_23Merge_v2_magic_divisionINS5_IJiiiEEEEESN_NS_8RightPadIiiLb0EEESP_NS_7UnMergeISJ_Lb0EEESG_EEENS5_IJNS_8SequenceIJLi0EEEENST_IJLi1EEEENST_IJLi2EEEENST_IJLi3EEEENST_IJLi4EEEENST_IJLi5EEEENST_IJLi6EEEENST_IJLi7EEEENST_IJLi8EEEENST_IJLi9ELi11ELi13EEEENST_IJLi10ELi12ELi14EEEENST_IJLi15EEEENST_IJLi16EEEENST_IJLi18EEEENST_IJLi17EEEEEEENS5_IJNST_IJLi1ELi2ELi3ELi4EEEESZ_S10_S11_S12_NST_IJLi9EEEENST_IJLi10ELi11EEEENST_IJLi12ELi13EEEENST_IJLi14EEEES15_S16_S18_S17_NST_IJLi19ELi20EEEENST_IJLi21EEEEEEENST_IJLi19ELi21ELi20EEEElEENSB_INS5_IJSR_SP_SP_SR_SG_EEENS5_IJSU_SV_SW_SY_SX_EEENS5_IJNST_IJLi1ELi2EEEESX_SY_NST_IJLi5ELi6EEEES11_EEENST_IJLi5ELi7ELi6EEEElEENSB_INS5_IJSK_SP_SP_EEENS5_IJSU_SV_SW_EEENS5_IJS1M_SX_SY_EEENST_IJLi3ELi4EEEElEELi128ELi128ELi16ELi4ELi4ELi4ELi1ENST_IJLi8ELi2EEEES1W_NST_IJLi8ELi1ELi1ELi4EEEENST_IJLi2ELi1ELi128ELi1EEEENST_IJLi1ELi2ELi0ELi3EEEES1Z_NST_IJLi4ELi1ELi1ELi4EEEES1Z_NST_IJLi1ELi1ELi1ELi4EEEES1X_S1Y_S1Z_S1Z_S20_S1Z_S21_NST_IJLi0ELi1ELi2ELi3ELi4ELi5EEEELi5ELi4EEEaNS5_IJPKaEEEaS8_S8_S9_NSB_INS5_IJSE_SG_SI_SI_SG_SG_SK_SK_SG_SN_SN_SP_SP_SR_SG_SG_NSQ_INS5_IJiNS_17integral_constantIiLi128EEEEEELb0EEENSF_INS27_IiLi4EEEEEEEENS5_IJSU_SV_SW_SX_SY_SZ_S10_S11_S12_S13_S14_S15_S16_S17_S18_NST_IJLi19EEEES1G_NST_IJLi20EEEEEEENS5_IJS1A_SZ_S10_S11_S12_S1B_S1C_S1D_S1E_S15_S16_S18_S17_S1F_S1G_NST_IJLi22EEEENST_IJLi23ELi24EEEENST_IJLi25EEEEEEENST_IJLi22ELi23ELi24ELi25EEEElEENSB_INS5_IJSR_SP_SP_SR_SG_SG_S2A_S2C_EEENS5_IJSU_SV_SW_SY_SX_SZ_S11_S10_EEENS5_IJS1M_SX_SY_S1N_S11_S12_NST_IJLi9ELi10EEEENST_IJLi11EEEEEEENST_IJLi8ELi9ELi10ELi11EEEElEENS5_IJNSB_INS5_IJSK_SP_SP_NSQ_INS5_IJiNS27_IiLi2EEENS27_IiLi64EEEEEELb0EEES2X_EEENS5_IJSU_SV_SW_SX_SY_EEENS5_IJS1M_SX_SY_NST_IJLi5ELi6ELi7EEEENST_IJLi8ELi9ELi10EEEEEEENST_IJLi5ELi6ELi7ELi8ELi9ELi10EEEElEEEEES34_NS_31BlockToCTileMap_M00_N00_M01_N01ILi128ELi128ES1V_Lb0EEENS1_30ComputePtrOffsetOfStridedBatchILi1ELi1ELi1EvEELb0ELb0EEEvPKT0_S3C_T1_PT2_T3_T4_T5_iT6_T7_T8_T9_T10_T11_.numbered_sgpr, 67
	.set _ZN2ck16tensor_operation6device12_GLOBAL__N_137kernel_grouped_conv_fwd_dl_multiple_dINS_32GridwiseGemmDlMultipleD_km_kn_mnILi256EaiNS_5TupleIJaEEEaNS0_12element_wise11PassThroughES8_NS7_7AddReluELNS_25InMemoryDataOperationEnumE0ENS_16TensorDescriptorINS5_IJNS_5EmbedINS5_IJiiiiEEESD_Lb0EEENS_11PassThroughIiEENS_3PadIiiiLb0EEESI_SG_SG_NSC_INS5_IJiiEEESJ_Lb0EEESK_SG_NS_23Merge_v2_magic_divisionINS5_IJiiiEEEEESN_NS_8RightPadIiiLb0EEESP_NS_7UnMergeISJ_Lb0EEESG_EEENS5_IJNS_8SequenceIJLi0EEEENST_IJLi1EEEENST_IJLi2EEEENST_IJLi3EEEENST_IJLi4EEEENST_IJLi5EEEENST_IJLi6EEEENST_IJLi7EEEENST_IJLi8EEEENST_IJLi9ELi11ELi13EEEENST_IJLi10ELi12ELi14EEEENST_IJLi15EEEENST_IJLi16EEEENST_IJLi18EEEENST_IJLi17EEEEEEENS5_IJNST_IJLi1ELi2ELi3ELi4EEEESZ_S10_S11_S12_NST_IJLi9EEEENST_IJLi10ELi11EEEENST_IJLi12ELi13EEEENST_IJLi14EEEES15_S16_S18_S17_NST_IJLi19ELi20EEEENST_IJLi21EEEEEEENST_IJLi19ELi21ELi20EEEElEENSB_INS5_IJSR_SP_SP_SR_SG_EEENS5_IJSU_SV_SW_SY_SX_EEENS5_IJNST_IJLi1ELi2EEEESX_SY_NST_IJLi5ELi6EEEES11_EEENST_IJLi5ELi7ELi6EEEElEENSB_INS5_IJSK_SP_SP_EEENS5_IJSU_SV_SW_EEENS5_IJS1M_SX_SY_EEENST_IJLi3ELi4EEEElEELi128ELi128ELi16ELi4ELi4ELi4ELi1ENST_IJLi8ELi2EEEES1W_NST_IJLi8ELi1ELi1ELi4EEEENST_IJLi2ELi1ELi128ELi1EEEENST_IJLi1ELi2ELi0ELi3EEEES1Z_NST_IJLi4ELi1ELi1ELi4EEEES1Z_NST_IJLi1ELi1ELi1ELi4EEEES1X_S1Y_S1Z_S1Z_S20_S1Z_S21_NST_IJLi0ELi1ELi2ELi3ELi4ELi5EEEELi5ELi4EEEaNS5_IJPKaEEEaS8_S8_S9_NSB_INS5_IJSE_SG_SI_SI_SG_SG_SK_SK_SG_SN_SN_SP_SP_SR_SG_SG_NSQ_INS5_IJiNS_17integral_constantIiLi128EEEEEELb0EEENSF_INS27_IiLi4EEEEEEEENS5_IJSU_SV_SW_SX_SY_SZ_S10_S11_S12_S13_S14_S15_S16_S17_S18_NST_IJLi19EEEES1G_NST_IJLi20EEEEEEENS5_IJS1A_SZ_S10_S11_S12_S1B_S1C_S1D_S1E_S15_S16_S18_S17_S1F_S1G_NST_IJLi22EEEENST_IJLi23ELi24EEEENST_IJLi25EEEEEEENST_IJLi22ELi23ELi24ELi25EEEElEENSB_INS5_IJSR_SP_SP_SR_SG_SG_S2A_S2C_EEENS5_IJSU_SV_SW_SY_SX_SZ_S11_S10_EEENS5_IJS1M_SX_SY_S1N_S11_S12_NST_IJLi9ELi10EEEENST_IJLi11EEEEEEENST_IJLi8ELi9ELi10ELi11EEEElEENS5_IJNSB_INS5_IJSK_SP_SP_NSQ_INS5_IJiNS27_IiLi2EEENS27_IiLi64EEEEEELb0EEES2X_EEENS5_IJSU_SV_SW_SX_SY_EEENS5_IJS1M_SX_SY_NST_IJLi5ELi6ELi7EEEENST_IJLi8ELi9ELi10EEEEEEENST_IJLi5ELi6ELi7ELi8ELi9ELi10EEEElEEEEES34_NS_31BlockToCTileMap_M00_N00_M01_N01ILi128ELi128ES1V_Lb0EEENS1_30ComputePtrOffsetOfStridedBatchILi1ELi1ELi1EvEELb0ELb0EEEvPKT0_S3C_T1_PT2_T3_T4_T5_iT6_T7_T8_T9_T10_T11_.num_named_barrier, 0
	.set _ZN2ck16tensor_operation6device12_GLOBAL__N_137kernel_grouped_conv_fwd_dl_multiple_dINS_32GridwiseGemmDlMultipleD_km_kn_mnILi256EaiNS_5TupleIJaEEEaNS0_12element_wise11PassThroughES8_NS7_7AddReluELNS_25InMemoryDataOperationEnumE0ENS_16TensorDescriptorINS5_IJNS_5EmbedINS5_IJiiiiEEESD_Lb0EEENS_11PassThroughIiEENS_3PadIiiiLb0EEESI_SG_SG_NSC_INS5_IJiiEEESJ_Lb0EEESK_SG_NS_23Merge_v2_magic_divisionINS5_IJiiiEEEEESN_NS_8RightPadIiiLb0EEESP_NS_7UnMergeISJ_Lb0EEESG_EEENS5_IJNS_8SequenceIJLi0EEEENST_IJLi1EEEENST_IJLi2EEEENST_IJLi3EEEENST_IJLi4EEEENST_IJLi5EEEENST_IJLi6EEEENST_IJLi7EEEENST_IJLi8EEEENST_IJLi9ELi11ELi13EEEENST_IJLi10ELi12ELi14EEEENST_IJLi15EEEENST_IJLi16EEEENST_IJLi18EEEENST_IJLi17EEEEEEENS5_IJNST_IJLi1ELi2ELi3ELi4EEEESZ_S10_S11_S12_NST_IJLi9EEEENST_IJLi10ELi11EEEENST_IJLi12ELi13EEEENST_IJLi14EEEES15_S16_S18_S17_NST_IJLi19ELi20EEEENST_IJLi21EEEEEEENST_IJLi19ELi21ELi20EEEElEENSB_INS5_IJSR_SP_SP_SR_SG_EEENS5_IJSU_SV_SW_SY_SX_EEENS5_IJNST_IJLi1ELi2EEEESX_SY_NST_IJLi5ELi6EEEES11_EEENST_IJLi5ELi7ELi6EEEElEENSB_INS5_IJSK_SP_SP_EEENS5_IJSU_SV_SW_EEENS5_IJS1M_SX_SY_EEENST_IJLi3ELi4EEEElEELi128ELi128ELi16ELi4ELi4ELi4ELi1ENST_IJLi8ELi2EEEES1W_NST_IJLi8ELi1ELi1ELi4EEEENST_IJLi2ELi1ELi128ELi1EEEENST_IJLi1ELi2ELi0ELi3EEEES1Z_NST_IJLi4ELi1ELi1ELi4EEEES1Z_NST_IJLi1ELi1ELi1ELi4EEEES1X_S1Y_S1Z_S1Z_S20_S1Z_S21_NST_IJLi0ELi1ELi2ELi3ELi4ELi5EEEELi5ELi4EEEaNS5_IJPKaEEEaS8_S8_S9_NSB_INS5_IJSE_SG_SI_SI_SG_SG_SK_SK_SG_SN_SN_SP_SP_SR_SG_SG_NSQ_INS5_IJiNS_17integral_constantIiLi128EEEEEELb0EEENSF_INS27_IiLi4EEEEEEEENS5_IJSU_SV_SW_SX_SY_SZ_S10_S11_S12_S13_S14_S15_S16_S17_S18_NST_IJLi19EEEES1G_NST_IJLi20EEEEEEENS5_IJS1A_SZ_S10_S11_S12_S1B_S1C_S1D_S1E_S15_S16_S18_S17_S1F_S1G_NST_IJLi22EEEENST_IJLi23ELi24EEEENST_IJLi25EEEEEEENST_IJLi22ELi23ELi24ELi25EEEElEENSB_INS5_IJSR_SP_SP_SR_SG_SG_S2A_S2C_EEENS5_IJSU_SV_SW_SY_SX_SZ_S11_S10_EEENS5_IJS1M_SX_SY_S1N_S11_S12_NST_IJLi9ELi10EEEENST_IJLi11EEEEEEENST_IJLi8ELi9ELi10ELi11EEEElEENS5_IJNSB_INS5_IJSK_SP_SP_NSQ_INS5_IJiNS27_IiLi2EEENS27_IiLi64EEEEEELb0EEES2X_EEENS5_IJSU_SV_SW_SX_SY_EEENS5_IJS1M_SX_SY_NST_IJLi5ELi6ELi7EEEENST_IJLi8ELi9ELi10EEEEEEENST_IJLi5ELi6ELi7ELi8ELi9ELi10EEEElEEEEES34_NS_31BlockToCTileMap_M00_N00_M01_N01ILi128ELi128ES1V_Lb0EEENS1_30ComputePtrOffsetOfStridedBatchILi1ELi1ELi1EvEELb0ELb0EEEvPKT0_S3C_T1_PT2_T3_T4_T5_iT6_T7_T8_T9_T10_T11_.private_seg_size, 0
	.set _ZN2ck16tensor_operation6device12_GLOBAL__N_137kernel_grouped_conv_fwd_dl_multiple_dINS_32GridwiseGemmDlMultipleD_km_kn_mnILi256EaiNS_5TupleIJaEEEaNS0_12element_wise11PassThroughES8_NS7_7AddReluELNS_25InMemoryDataOperationEnumE0ENS_16TensorDescriptorINS5_IJNS_5EmbedINS5_IJiiiiEEESD_Lb0EEENS_11PassThroughIiEENS_3PadIiiiLb0EEESI_SG_SG_NSC_INS5_IJiiEEESJ_Lb0EEESK_SG_NS_23Merge_v2_magic_divisionINS5_IJiiiEEEEESN_NS_8RightPadIiiLb0EEESP_NS_7UnMergeISJ_Lb0EEESG_EEENS5_IJNS_8SequenceIJLi0EEEENST_IJLi1EEEENST_IJLi2EEEENST_IJLi3EEEENST_IJLi4EEEENST_IJLi5EEEENST_IJLi6EEEENST_IJLi7EEEENST_IJLi8EEEENST_IJLi9ELi11ELi13EEEENST_IJLi10ELi12ELi14EEEENST_IJLi15EEEENST_IJLi16EEEENST_IJLi18EEEENST_IJLi17EEEEEEENS5_IJNST_IJLi1ELi2ELi3ELi4EEEESZ_S10_S11_S12_NST_IJLi9EEEENST_IJLi10ELi11EEEENST_IJLi12ELi13EEEENST_IJLi14EEEES15_S16_S18_S17_NST_IJLi19ELi20EEEENST_IJLi21EEEEEEENST_IJLi19ELi21ELi20EEEElEENSB_INS5_IJSR_SP_SP_SR_SG_EEENS5_IJSU_SV_SW_SY_SX_EEENS5_IJNST_IJLi1ELi2EEEESX_SY_NST_IJLi5ELi6EEEES11_EEENST_IJLi5ELi7ELi6EEEElEENSB_INS5_IJSK_SP_SP_EEENS5_IJSU_SV_SW_EEENS5_IJS1M_SX_SY_EEENST_IJLi3ELi4EEEElEELi128ELi128ELi16ELi4ELi4ELi4ELi1ENST_IJLi8ELi2EEEES1W_NST_IJLi8ELi1ELi1ELi4EEEENST_IJLi2ELi1ELi128ELi1EEEENST_IJLi1ELi2ELi0ELi3EEEES1Z_NST_IJLi4ELi1ELi1ELi4EEEES1Z_NST_IJLi1ELi1ELi1ELi4EEEES1X_S1Y_S1Z_S1Z_S20_S1Z_S21_NST_IJLi0ELi1ELi2ELi3ELi4ELi5EEEELi5ELi4EEEaNS5_IJPKaEEEaS8_S8_S9_NSB_INS5_IJSE_SG_SI_SI_SG_SG_SK_SK_SG_SN_SN_SP_SP_SR_SG_SG_NSQ_INS5_IJiNS_17integral_constantIiLi128EEEEEELb0EEENSF_INS27_IiLi4EEEEEEEENS5_IJSU_SV_SW_SX_SY_SZ_S10_S11_S12_S13_S14_S15_S16_S17_S18_NST_IJLi19EEEES1G_NST_IJLi20EEEEEEENS5_IJS1A_SZ_S10_S11_S12_S1B_S1C_S1D_S1E_S15_S16_S18_S17_S1F_S1G_NST_IJLi22EEEENST_IJLi23ELi24EEEENST_IJLi25EEEEEEENST_IJLi22ELi23ELi24ELi25EEEElEENSB_INS5_IJSR_SP_SP_SR_SG_SG_S2A_S2C_EEENS5_IJSU_SV_SW_SY_SX_SZ_S11_S10_EEENS5_IJS1M_SX_SY_S1N_S11_S12_NST_IJLi9ELi10EEEENST_IJLi11EEEEEEENST_IJLi8ELi9ELi10ELi11EEEElEENS5_IJNSB_INS5_IJSK_SP_SP_NSQ_INS5_IJiNS27_IiLi2EEENS27_IiLi64EEEEEELb0EEES2X_EEENS5_IJSU_SV_SW_SX_SY_EEENS5_IJS1M_SX_SY_NST_IJLi5ELi6ELi7EEEENST_IJLi8ELi9ELi10EEEEEEENST_IJLi5ELi6ELi7ELi8ELi9ELi10EEEElEEEEES34_NS_31BlockToCTileMap_M00_N00_M01_N01ILi128ELi128ES1V_Lb0EEENS1_30ComputePtrOffsetOfStridedBatchILi1ELi1ELi1EvEELb0ELb0EEEvPKT0_S3C_T1_PT2_T3_T4_T5_iT6_T7_T8_T9_T10_T11_.uses_vcc, 1
	.set _ZN2ck16tensor_operation6device12_GLOBAL__N_137kernel_grouped_conv_fwd_dl_multiple_dINS_32GridwiseGemmDlMultipleD_km_kn_mnILi256EaiNS_5TupleIJaEEEaNS0_12element_wise11PassThroughES8_NS7_7AddReluELNS_25InMemoryDataOperationEnumE0ENS_16TensorDescriptorINS5_IJNS_5EmbedINS5_IJiiiiEEESD_Lb0EEENS_11PassThroughIiEENS_3PadIiiiLb0EEESI_SG_SG_NSC_INS5_IJiiEEESJ_Lb0EEESK_SG_NS_23Merge_v2_magic_divisionINS5_IJiiiEEEEESN_NS_8RightPadIiiLb0EEESP_NS_7UnMergeISJ_Lb0EEESG_EEENS5_IJNS_8SequenceIJLi0EEEENST_IJLi1EEEENST_IJLi2EEEENST_IJLi3EEEENST_IJLi4EEEENST_IJLi5EEEENST_IJLi6EEEENST_IJLi7EEEENST_IJLi8EEEENST_IJLi9ELi11ELi13EEEENST_IJLi10ELi12ELi14EEEENST_IJLi15EEEENST_IJLi16EEEENST_IJLi18EEEENST_IJLi17EEEEEEENS5_IJNST_IJLi1ELi2ELi3ELi4EEEESZ_S10_S11_S12_NST_IJLi9EEEENST_IJLi10ELi11EEEENST_IJLi12ELi13EEEENST_IJLi14EEEES15_S16_S18_S17_NST_IJLi19ELi20EEEENST_IJLi21EEEEEEENST_IJLi19ELi21ELi20EEEElEENSB_INS5_IJSR_SP_SP_SR_SG_EEENS5_IJSU_SV_SW_SY_SX_EEENS5_IJNST_IJLi1ELi2EEEESX_SY_NST_IJLi5ELi6EEEES11_EEENST_IJLi5ELi7ELi6EEEElEENSB_INS5_IJSK_SP_SP_EEENS5_IJSU_SV_SW_EEENS5_IJS1M_SX_SY_EEENST_IJLi3ELi4EEEElEELi128ELi128ELi16ELi4ELi4ELi4ELi1ENST_IJLi8ELi2EEEES1W_NST_IJLi8ELi1ELi1ELi4EEEENST_IJLi2ELi1ELi128ELi1EEEENST_IJLi1ELi2ELi0ELi3EEEES1Z_NST_IJLi4ELi1ELi1ELi4EEEES1Z_NST_IJLi1ELi1ELi1ELi4EEEES1X_S1Y_S1Z_S1Z_S20_S1Z_S21_NST_IJLi0ELi1ELi2ELi3ELi4ELi5EEEELi5ELi4EEEaNS5_IJPKaEEEaS8_S8_S9_NSB_INS5_IJSE_SG_SI_SI_SG_SG_SK_SK_SG_SN_SN_SP_SP_SR_SG_SG_NSQ_INS5_IJiNS_17integral_constantIiLi128EEEEEELb0EEENSF_INS27_IiLi4EEEEEEEENS5_IJSU_SV_SW_SX_SY_SZ_S10_S11_S12_S13_S14_S15_S16_S17_S18_NST_IJLi19EEEES1G_NST_IJLi20EEEEEEENS5_IJS1A_SZ_S10_S11_S12_S1B_S1C_S1D_S1E_S15_S16_S18_S17_S1F_S1G_NST_IJLi22EEEENST_IJLi23ELi24EEEENST_IJLi25EEEEEEENST_IJLi22ELi23ELi24ELi25EEEElEENSB_INS5_IJSR_SP_SP_SR_SG_SG_S2A_S2C_EEENS5_IJSU_SV_SW_SY_SX_SZ_S11_S10_EEENS5_IJS1M_SX_SY_S1N_S11_S12_NST_IJLi9ELi10EEEENST_IJLi11EEEEEEENST_IJLi8ELi9ELi10ELi11EEEElEENS5_IJNSB_INS5_IJSK_SP_SP_NSQ_INS5_IJiNS27_IiLi2EEENS27_IiLi64EEEEEELb0EEES2X_EEENS5_IJSU_SV_SW_SX_SY_EEENS5_IJS1M_SX_SY_NST_IJLi5ELi6ELi7EEEENST_IJLi8ELi9ELi10EEEEEEENST_IJLi5ELi6ELi7ELi8ELi9ELi10EEEElEEEEES34_NS_31BlockToCTileMap_M00_N00_M01_N01ILi128ELi128ES1V_Lb0EEENS1_30ComputePtrOffsetOfStridedBatchILi1ELi1ELi1EvEELb0ELb0EEEvPKT0_S3C_T1_PT2_T3_T4_T5_iT6_T7_T8_T9_T10_T11_.uses_flat_scratch, 0
	.set _ZN2ck16tensor_operation6device12_GLOBAL__N_137kernel_grouped_conv_fwd_dl_multiple_dINS_32GridwiseGemmDlMultipleD_km_kn_mnILi256EaiNS_5TupleIJaEEEaNS0_12element_wise11PassThroughES8_NS7_7AddReluELNS_25InMemoryDataOperationEnumE0ENS_16TensorDescriptorINS5_IJNS_5EmbedINS5_IJiiiiEEESD_Lb0EEENS_11PassThroughIiEENS_3PadIiiiLb0EEESI_SG_SG_NSC_INS5_IJiiEEESJ_Lb0EEESK_SG_NS_23Merge_v2_magic_divisionINS5_IJiiiEEEEESN_NS_8RightPadIiiLb0EEESP_NS_7UnMergeISJ_Lb0EEESG_EEENS5_IJNS_8SequenceIJLi0EEEENST_IJLi1EEEENST_IJLi2EEEENST_IJLi3EEEENST_IJLi4EEEENST_IJLi5EEEENST_IJLi6EEEENST_IJLi7EEEENST_IJLi8EEEENST_IJLi9ELi11ELi13EEEENST_IJLi10ELi12ELi14EEEENST_IJLi15EEEENST_IJLi16EEEENST_IJLi18EEEENST_IJLi17EEEEEEENS5_IJNST_IJLi1ELi2ELi3ELi4EEEESZ_S10_S11_S12_NST_IJLi9EEEENST_IJLi10ELi11EEEENST_IJLi12ELi13EEEENST_IJLi14EEEES15_S16_S18_S17_NST_IJLi19ELi20EEEENST_IJLi21EEEEEEENST_IJLi19ELi21ELi20EEEElEENSB_INS5_IJSR_SP_SP_SR_SG_EEENS5_IJSU_SV_SW_SY_SX_EEENS5_IJNST_IJLi1ELi2EEEESX_SY_NST_IJLi5ELi6EEEES11_EEENST_IJLi5ELi7ELi6EEEElEENSB_INS5_IJSK_SP_SP_EEENS5_IJSU_SV_SW_EEENS5_IJS1M_SX_SY_EEENST_IJLi3ELi4EEEElEELi128ELi128ELi16ELi4ELi4ELi4ELi1ENST_IJLi8ELi2EEEES1W_NST_IJLi8ELi1ELi1ELi4EEEENST_IJLi2ELi1ELi128ELi1EEEENST_IJLi1ELi2ELi0ELi3EEEES1Z_NST_IJLi4ELi1ELi1ELi4EEEES1Z_NST_IJLi1ELi1ELi1ELi4EEEES1X_S1Y_S1Z_S1Z_S20_S1Z_S21_NST_IJLi0ELi1ELi2ELi3ELi4ELi5EEEELi5ELi4EEEaNS5_IJPKaEEEaS8_S8_S9_NSB_INS5_IJSE_SG_SI_SI_SG_SG_SK_SK_SG_SN_SN_SP_SP_SR_SG_SG_NSQ_INS5_IJiNS_17integral_constantIiLi128EEEEEELb0EEENSF_INS27_IiLi4EEEEEEEENS5_IJSU_SV_SW_SX_SY_SZ_S10_S11_S12_S13_S14_S15_S16_S17_S18_NST_IJLi19EEEES1G_NST_IJLi20EEEEEEENS5_IJS1A_SZ_S10_S11_S12_S1B_S1C_S1D_S1E_S15_S16_S18_S17_S1F_S1G_NST_IJLi22EEEENST_IJLi23ELi24EEEENST_IJLi25EEEEEEENST_IJLi22ELi23ELi24ELi25EEEElEENSB_INS5_IJSR_SP_SP_SR_SG_SG_S2A_S2C_EEENS5_IJSU_SV_SW_SY_SX_SZ_S11_S10_EEENS5_IJS1M_SX_SY_S1N_S11_S12_NST_IJLi9ELi10EEEENST_IJLi11EEEEEEENST_IJLi8ELi9ELi10ELi11EEEElEENS5_IJNSB_INS5_IJSK_SP_SP_NSQ_INS5_IJiNS27_IiLi2EEENS27_IiLi64EEEEEELb0EEES2X_EEENS5_IJSU_SV_SW_SX_SY_EEENS5_IJS1M_SX_SY_NST_IJLi5ELi6ELi7EEEENST_IJLi8ELi9ELi10EEEEEEENST_IJLi5ELi6ELi7ELi8ELi9ELi10EEEElEEEEES34_NS_31BlockToCTileMap_M00_N00_M01_N01ILi128ELi128ES1V_Lb0EEENS1_30ComputePtrOffsetOfStridedBatchILi1ELi1ELi1EvEELb0ELb0EEEvPKT0_S3C_T1_PT2_T3_T4_T5_iT6_T7_T8_T9_T10_T11_.has_dyn_sized_stack, 0
	.set _ZN2ck16tensor_operation6device12_GLOBAL__N_137kernel_grouped_conv_fwd_dl_multiple_dINS_32GridwiseGemmDlMultipleD_km_kn_mnILi256EaiNS_5TupleIJaEEEaNS0_12element_wise11PassThroughES8_NS7_7AddReluELNS_25InMemoryDataOperationEnumE0ENS_16TensorDescriptorINS5_IJNS_5EmbedINS5_IJiiiiEEESD_Lb0EEENS_11PassThroughIiEENS_3PadIiiiLb0EEESI_SG_SG_NSC_INS5_IJiiEEESJ_Lb0EEESK_SG_NS_23Merge_v2_magic_divisionINS5_IJiiiEEEEESN_NS_8RightPadIiiLb0EEESP_NS_7UnMergeISJ_Lb0EEESG_EEENS5_IJNS_8SequenceIJLi0EEEENST_IJLi1EEEENST_IJLi2EEEENST_IJLi3EEEENST_IJLi4EEEENST_IJLi5EEEENST_IJLi6EEEENST_IJLi7EEEENST_IJLi8EEEENST_IJLi9ELi11ELi13EEEENST_IJLi10ELi12ELi14EEEENST_IJLi15EEEENST_IJLi16EEEENST_IJLi18EEEENST_IJLi17EEEEEEENS5_IJNST_IJLi1ELi2ELi3ELi4EEEESZ_S10_S11_S12_NST_IJLi9EEEENST_IJLi10ELi11EEEENST_IJLi12ELi13EEEENST_IJLi14EEEES15_S16_S18_S17_NST_IJLi19ELi20EEEENST_IJLi21EEEEEEENST_IJLi19ELi21ELi20EEEElEENSB_INS5_IJSR_SP_SP_SR_SG_EEENS5_IJSU_SV_SW_SY_SX_EEENS5_IJNST_IJLi1ELi2EEEESX_SY_NST_IJLi5ELi6EEEES11_EEENST_IJLi5ELi7ELi6EEEElEENSB_INS5_IJSK_SP_SP_EEENS5_IJSU_SV_SW_EEENS5_IJS1M_SX_SY_EEENST_IJLi3ELi4EEEElEELi128ELi128ELi16ELi4ELi4ELi4ELi1ENST_IJLi8ELi2EEEES1W_NST_IJLi8ELi1ELi1ELi4EEEENST_IJLi2ELi1ELi128ELi1EEEENST_IJLi1ELi2ELi0ELi3EEEES1Z_NST_IJLi4ELi1ELi1ELi4EEEES1Z_NST_IJLi1ELi1ELi1ELi4EEEES1X_S1Y_S1Z_S1Z_S20_S1Z_S21_NST_IJLi0ELi1ELi2ELi3ELi4ELi5EEEELi5ELi4EEEaNS5_IJPKaEEEaS8_S8_S9_NSB_INS5_IJSE_SG_SI_SI_SG_SG_SK_SK_SG_SN_SN_SP_SP_SR_SG_SG_NSQ_INS5_IJiNS_17integral_constantIiLi128EEEEEELb0EEENSF_INS27_IiLi4EEEEEEEENS5_IJSU_SV_SW_SX_SY_SZ_S10_S11_S12_S13_S14_S15_S16_S17_S18_NST_IJLi19EEEES1G_NST_IJLi20EEEEEEENS5_IJS1A_SZ_S10_S11_S12_S1B_S1C_S1D_S1E_S15_S16_S18_S17_S1F_S1G_NST_IJLi22EEEENST_IJLi23ELi24EEEENST_IJLi25EEEEEEENST_IJLi22ELi23ELi24ELi25EEEElEENSB_INS5_IJSR_SP_SP_SR_SG_SG_S2A_S2C_EEENS5_IJSU_SV_SW_SY_SX_SZ_S11_S10_EEENS5_IJS1M_SX_SY_S1N_S11_S12_NST_IJLi9ELi10EEEENST_IJLi11EEEEEEENST_IJLi8ELi9ELi10ELi11EEEElEENS5_IJNSB_INS5_IJSK_SP_SP_NSQ_INS5_IJiNS27_IiLi2EEENS27_IiLi64EEEEEELb0EEES2X_EEENS5_IJSU_SV_SW_SX_SY_EEENS5_IJS1M_SX_SY_NST_IJLi5ELi6ELi7EEEENST_IJLi8ELi9ELi10EEEEEEENST_IJLi5ELi6ELi7ELi8ELi9ELi10EEEElEEEEES34_NS_31BlockToCTileMap_M00_N00_M01_N01ILi128ELi128ES1V_Lb0EEENS1_30ComputePtrOffsetOfStridedBatchILi1ELi1ELi1EvEELb0ELb0EEEvPKT0_S3C_T1_PT2_T3_T4_T5_iT6_T7_T8_T9_T10_T11_.has_recursion, 0
	.set _ZN2ck16tensor_operation6device12_GLOBAL__N_137kernel_grouped_conv_fwd_dl_multiple_dINS_32GridwiseGemmDlMultipleD_km_kn_mnILi256EaiNS_5TupleIJaEEEaNS0_12element_wise11PassThroughES8_NS7_7AddReluELNS_25InMemoryDataOperationEnumE0ENS_16TensorDescriptorINS5_IJNS_5EmbedINS5_IJiiiiEEESD_Lb0EEENS_11PassThroughIiEENS_3PadIiiiLb0EEESI_SG_SG_NSC_INS5_IJiiEEESJ_Lb0EEESK_SG_NS_23Merge_v2_magic_divisionINS5_IJiiiEEEEESN_NS_8RightPadIiiLb0EEESP_NS_7UnMergeISJ_Lb0EEESG_EEENS5_IJNS_8SequenceIJLi0EEEENST_IJLi1EEEENST_IJLi2EEEENST_IJLi3EEEENST_IJLi4EEEENST_IJLi5EEEENST_IJLi6EEEENST_IJLi7EEEENST_IJLi8EEEENST_IJLi9ELi11ELi13EEEENST_IJLi10ELi12ELi14EEEENST_IJLi15EEEENST_IJLi16EEEENST_IJLi18EEEENST_IJLi17EEEEEEENS5_IJNST_IJLi1ELi2ELi3ELi4EEEESZ_S10_S11_S12_NST_IJLi9EEEENST_IJLi10ELi11EEEENST_IJLi12ELi13EEEENST_IJLi14EEEES15_S16_S18_S17_NST_IJLi19ELi20EEEENST_IJLi21EEEEEEENST_IJLi19ELi21ELi20EEEElEENSB_INS5_IJSR_SP_SP_SR_SG_EEENS5_IJSU_SV_SW_SY_SX_EEENS5_IJNST_IJLi1ELi2EEEESX_SY_NST_IJLi5ELi6EEEES11_EEENST_IJLi5ELi7ELi6EEEElEENSB_INS5_IJSK_SP_SP_EEENS5_IJSU_SV_SW_EEENS5_IJS1M_SX_SY_EEENST_IJLi3ELi4EEEElEELi128ELi128ELi16ELi4ELi4ELi4ELi1ENST_IJLi8ELi2EEEES1W_NST_IJLi8ELi1ELi1ELi4EEEENST_IJLi2ELi1ELi128ELi1EEEENST_IJLi1ELi2ELi0ELi3EEEES1Z_NST_IJLi4ELi1ELi1ELi4EEEES1Z_NST_IJLi1ELi1ELi1ELi4EEEES1X_S1Y_S1Z_S1Z_S20_S1Z_S21_NST_IJLi0ELi1ELi2ELi3ELi4ELi5EEEELi5ELi4EEEaNS5_IJPKaEEEaS8_S8_S9_NSB_INS5_IJSE_SG_SI_SI_SG_SG_SK_SK_SG_SN_SN_SP_SP_SR_SG_SG_NSQ_INS5_IJiNS_17integral_constantIiLi128EEEEEELb0EEENSF_INS27_IiLi4EEEEEEEENS5_IJSU_SV_SW_SX_SY_SZ_S10_S11_S12_S13_S14_S15_S16_S17_S18_NST_IJLi19EEEES1G_NST_IJLi20EEEEEEENS5_IJS1A_SZ_S10_S11_S12_S1B_S1C_S1D_S1E_S15_S16_S18_S17_S1F_S1G_NST_IJLi22EEEENST_IJLi23ELi24EEEENST_IJLi25EEEEEEENST_IJLi22ELi23ELi24ELi25EEEElEENSB_INS5_IJSR_SP_SP_SR_SG_SG_S2A_S2C_EEENS5_IJSU_SV_SW_SY_SX_SZ_S11_S10_EEENS5_IJS1M_SX_SY_S1N_S11_S12_NST_IJLi9ELi10EEEENST_IJLi11EEEEEEENST_IJLi8ELi9ELi10ELi11EEEElEENS5_IJNSB_INS5_IJSK_SP_SP_NSQ_INS5_IJiNS27_IiLi2EEENS27_IiLi64EEEEEELb0EEES2X_EEENS5_IJSU_SV_SW_SX_SY_EEENS5_IJS1M_SX_SY_NST_IJLi5ELi6ELi7EEEENST_IJLi8ELi9ELi10EEEEEEENST_IJLi5ELi6ELi7ELi8ELi9ELi10EEEElEEEEES34_NS_31BlockToCTileMap_M00_N00_M01_N01ILi128ELi128ES1V_Lb0EEENS1_30ComputePtrOffsetOfStridedBatchILi1ELi1ELi1EvEELb0ELb0EEEvPKT0_S3C_T1_PT2_T3_T4_T5_iT6_T7_T8_T9_T10_T11_.has_indirect_call, 0
	.section	.AMDGPU.csdata,"",@progbits
; Kernel info:
; codeLenInByte = 14484
; TotalNumSgprs: 69
; NumVgprs: 141
; ScratchSize: 0
; MemoryBound: 0
; FloatMode: 240
; IeeeMode: 1
; LDSByteSize: 32768 bytes/workgroup (compile time only)
; SGPRBlocks: 0
; VGPRBlocks: 21
; NumSGPRsForWavesPerEU: 69
; NumVGPRsForWavesPerEU: 169
; Occupancy: 8
; WaveLimiterHint : 0
; COMPUTE_PGM_RSRC2:SCRATCH_EN: 0
; COMPUTE_PGM_RSRC2:USER_SGPR: 2
; COMPUTE_PGM_RSRC2:TRAP_HANDLER: 0
; COMPUTE_PGM_RSRC2:TGID_X_EN: 1
; COMPUTE_PGM_RSRC2:TGID_Y_EN: 0
; COMPUTE_PGM_RSRC2:TGID_Z_EN: 0
; COMPUTE_PGM_RSRC2:TIDIG_COMP_CNT: 0
	.section	.text._ZN2ck16tensor_operation6device12_GLOBAL__N_137kernel_grouped_conv_fwd_dl_multiple_dINS_32GridwiseGemmDlMultipleD_km_kn_mnILi256EaiNS_5TupleIJaEEEaNS0_12element_wise11PassThroughES8_NS7_7AddReluELNS_25InMemoryDataOperationEnumE0ENS_16TensorDescriptorINS5_IJNS_5EmbedINS5_IJiiiiiEEESD_Lb0EEENS_11PassThroughIiEENS_3PadIiiiLb0EEESI_SI_SG_SG_NSC_INS5_IJiiEEESJ_Lb0EEESK_SK_SG_NS_23Merge_v2_magic_divisionINS5_IJiiiiEEEEESN_NS_8RightPadIiiLb0EEESP_NS_7UnMergeISJ_Lb0EEESG_EEENS5_IJNS_8SequenceIJLi0EEEENST_IJLi1EEEENST_IJLi2EEEENST_IJLi3EEEENST_IJLi4EEEENST_IJLi5EEEENST_IJLi6EEEENST_IJLi7EEEENST_IJLi8EEEENST_IJLi9EEEENST_IJLi10EEEENST_IJLi11ELi13ELi15ELi17EEEENST_IJLi12ELi14ELi16ELi18EEEENST_IJLi19EEEENST_IJLi20EEEENST_IJLi22EEEENST_IJLi21EEEEEEENS5_IJNST_IJLi1ELi2ELi3ELi4ELi5EEEES10_S11_S12_S13_S14_NST_IJLi11EEEENST_IJLi12ELi13EEEENST_IJLi14ELi15EEEENST_IJLi16ELi17EEEENST_IJLi18EEEES17_S18_S1A_S19_NST_IJLi23ELi24EEEENST_IJLi25EEEEEEENST_IJLi23ELi25ELi24EEEElEENSB_INS5_IJSR_SP_SP_SR_SG_EEENS5_IJSU_SV_SW_SY_SX_EEENS5_IJNST_IJLi1ELi2EEEESX_SY_NST_IJLi5ELi6EEEES11_EEENST_IJLi5ELi7ELi6EEEElEENSB_INS5_IJSK_SP_SP_EEENS5_IJSU_SV_SW_EEENS5_IJS1P_SX_SY_EEENST_IJLi3ELi4EEEElEELi128ELi128ELi16ELi4ELi4ELi4ELi1ENST_IJLi8ELi2EEEES1Z_NST_IJLi8ELi1ELi1ELi4EEEENST_IJLi2ELi1ELi128ELi1EEEENST_IJLi1ELi2ELi0ELi3EEEES22_NST_IJLi4ELi1ELi1ELi4EEEES22_NST_IJLi1ELi1ELi1ELi4EEEES20_S21_S22_S22_S23_S22_S24_NST_IJLi0ELi1ELi2ELi3ELi4ELi5EEEELi5ELi4EEEaNS5_IJPKaEEEaS8_S8_S9_NSB_INS5_IJSE_SG_SI_SI_SI_SG_SG_SK_SK_SK_SG_SN_SN_SP_SP_SR_SG_SG_NSQ_INS5_IJiNS_17integral_constantIiLi128EEEEEELb0EEENSF_INS2A_IiLi4EEEEEEEENS5_IJSU_SV_SW_SX_SY_SZ_S10_S11_S12_S13_S14_S15_S16_S17_S18_S19_S1A_NST_IJLi23EEEES1J_NST_IJLi24EEEEEEENS5_IJS1C_S10_S11_S12_S13_S14_S1D_S1E_S1F_S1G_S1H_S17_S18_S1A_S19_S1I_S1J_NST_IJLi26EEEENST_IJLi27ELi28EEEENST_IJLi29EEEEEEENST_IJLi26ELi27ELi28ELi29EEEElEENSB_INS5_IJSR_SP_SP_SR_SG_SG_S2D_S2F_EEENS5_IJSU_SV_SW_SY_SX_SZ_S11_S10_EEENS5_IJS1P_SX_SY_S1Q_S11_S12_NST_IJLi9ELi10EEEES1D_EEENST_IJLi8ELi9ELi10ELi11EEEElEENS5_IJNSB_INS5_IJSK_SP_SP_NSQ_INS5_IJiNS2A_IiLi2EEENS2A_IiLi64EEEEEELb0EEES2Z_EEENS5_IJSU_SV_SW_SX_SY_EEENS5_IJS1P_SX_SY_NST_IJLi5ELi6ELi7EEEENST_IJLi8ELi9ELi10EEEEEEENST_IJLi5ELi6ELi7ELi8ELi9ELi10EEEElEEEEES36_NS_31BlockToCTileMap_M00_N00_M01_N01ILi128ELi128ES1Y_Lb0EEENS1_30ComputePtrOffsetOfStridedBatchILi1ELi1ELi1EvEELb1ELb1EEEvPKT0_S3E_T1_PT2_T3_T4_T5_iT6_T7_T8_T9_T10_T11_,"axG",@progbits,_ZN2ck16tensor_operation6device12_GLOBAL__N_137kernel_grouped_conv_fwd_dl_multiple_dINS_32GridwiseGemmDlMultipleD_km_kn_mnILi256EaiNS_5TupleIJaEEEaNS0_12element_wise11PassThroughES8_NS7_7AddReluELNS_25InMemoryDataOperationEnumE0ENS_16TensorDescriptorINS5_IJNS_5EmbedINS5_IJiiiiiEEESD_Lb0EEENS_11PassThroughIiEENS_3PadIiiiLb0EEESI_SI_SG_SG_NSC_INS5_IJiiEEESJ_Lb0EEESK_SK_SG_NS_23Merge_v2_magic_divisionINS5_IJiiiiEEEEESN_NS_8RightPadIiiLb0EEESP_NS_7UnMergeISJ_Lb0EEESG_EEENS5_IJNS_8SequenceIJLi0EEEENST_IJLi1EEEENST_IJLi2EEEENST_IJLi3EEEENST_IJLi4EEEENST_IJLi5EEEENST_IJLi6EEEENST_IJLi7EEEENST_IJLi8EEEENST_IJLi9EEEENST_IJLi10EEEENST_IJLi11ELi13ELi15ELi17EEEENST_IJLi12ELi14ELi16ELi18EEEENST_IJLi19EEEENST_IJLi20EEEENST_IJLi22EEEENST_IJLi21EEEEEEENS5_IJNST_IJLi1ELi2ELi3ELi4ELi5EEEES10_S11_S12_S13_S14_NST_IJLi11EEEENST_IJLi12ELi13EEEENST_IJLi14ELi15EEEENST_IJLi16ELi17EEEENST_IJLi18EEEES17_S18_S1A_S19_NST_IJLi23ELi24EEEENST_IJLi25EEEEEEENST_IJLi23ELi25ELi24EEEElEENSB_INS5_IJSR_SP_SP_SR_SG_EEENS5_IJSU_SV_SW_SY_SX_EEENS5_IJNST_IJLi1ELi2EEEESX_SY_NST_IJLi5ELi6EEEES11_EEENST_IJLi5ELi7ELi6EEEElEENSB_INS5_IJSK_SP_SP_EEENS5_IJSU_SV_SW_EEENS5_IJS1P_SX_SY_EEENST_IJLi3ELi4EEEElEELi128ELi128ELi16ELi4ELi4ELi4ELi1ENST_IJLi8ELi2EEEES1Z_NST_IJLi8ELi1ELi1ELi4EEEENST_IJLi2ELi1ELi128ELi1EEEENST_IJLi1ELi2ELi0ELi3EEEES22_NST_IJLi4ELi1ELi1ELi4EEEES22_NST_IJLi1ELi1ELi1ELi4EEEES20_S21_S22_S22_S23_S22_S24_NST_IJLi0ELi1ELi2ELi3ELi4ELi5EEEELi5ELi4EEEaNS5_IJPKaEEEaS8_S8_S9_NSB_INS5_IJSE_SG_SI_SI_SI_SG_SG_SK_SK_SK_SG_SN_SN_SP_SP_SR_SG_SG_NSQ_INS5_IJiNS_17integral_constantIiLi128EEEEEELb0EEENSF_INS2A_IiLi4EEEEEEEENS5_IJSU_SV_SW_SX_SY_SZ_S10_S11_S12_S13_S14_S15_S16_S17_S18_S19_S1A_NST_IJLi23EEEES1J_NST_IJLi24EEEEEEENS5_IJS1C_S10_S11_S12_S13_S14_S1D_S1E_S1F_S1G_S1H_S17_S18_S1A_S19_S1I_S1J_NST_IJLi26EEEENST_IJLi27ELi28EEEENST_IJLi29EEEEEEENST_IJLi26ELi27ELi28ELi29EEEElEENSB_INS5_IJSR_SP_SP_SR_SG_SG_S2D_S2F_EEENS5_IJSU_SV_SW_SY_SX_SZ_S11_S10_EEENS5_IJS1P_SX_SY_S1Q_S11_S12_NST_IJLi9ELi10EEEES1D_EEENST_IJLi8ELi9ELi10ELi11EEEElEENS5_IJNSB_INS5_IJSK_SP_SP_NSQ_INS5_IJiNS2A_IiLi2EEENS2A_IiLi64EEEEEELb0EEES2Z_EEENS5_IJSU_SV_SW_SX_SY_EEENS5_IJS1P_SX_SY_NST_IJLi5ELi6ELi7EEEENST_IJLi8ELi9ELi10EEEEEEENST_IJLi5ELi6ELi7ELi8ELi9ELi10EEEElEEEEES36_NS_31BlockToCTileMap_M00_N00_M01_N01ILi128ELi128ES1Y_Lb0EEENS1_30ComputePtrOffsetOfStridedBatchILi1ELi1ELi1EvEELb1ELb1EEEvPKT0_S3E_T1_PT2_T3_T4_T5_iT6_T7_T8_T9_T10_T11_,comdat
	.globl	_ZN2ck16tensor_operation6device12_GLOBAL__N_137kernel_grouped_conv_fwd_dl_multiple_dINS_32GridwiseGemmDlMultipleD_km_kn_mnILi256EaiNS_5TupleIJaEEEaNS0_12element_wise11PassThroughES8_NS7_7AddReluELNS_25InMemoryDataOperationEnumE0ENS_16TensorDescriptorINS5_IJNS_5EmbedINS5_IJiiiiiEEESD_Lb0EEENS_11PassThroughIiEENS_3PadIiiiLb0EEESI_SI_SG_SG_NSC_INS5_IJiiEEESJ_Lb0EEESK_SK_SG_NS_23Merge_v2_magic_divisionINS5_IJiiiiEEEEESN_NS_8RightPadIiiLb0EEESP_NS_7UnMergeISJ_Lb0EEESG_EEENS5_IJNS_8SequenceIJLi0EEEENST_IJLi1EEEENST_IJLi2EEEENST_IJLi3EEEENST_IJLi4EEEENST_IJLi5EEEENST_IJLi6EEEENST_IJLi7EEEENST_IJLi8EEEENST_IJLi9EEEENST_IJLi10EEEENST_IJLi11ELi13ELi15ELi17EEEENST_IJLi12ELi14ELi16ELi18EEEENST_IJLi19EEEENST_IJLi20EEEENST_IJLi22EEEENST_IJLi21EEEEEEENS5_IJNST_IJLi1ELi2ELi3ELi4ELi5EEEES10_S11_S12_S13_S14_NST_IJLi11EEEENST_IJLi12ELi13EEEENST_IJLi14ELi15EEEENST_IJLi16ELi17EEEENST_IJLi18EEEES17_S18_S1A_S19_NST_IJLi23ELi24EEEENST_IJLi25EEEEEEENST_IJLi23ELi25ELi24EEEElEENSB_INS5_IJSR_SP_SP_SR_SG_EEENS5_IJSU_SV_SW_SY_SX_EEENS5_IJNST_IJLi1ELi2EEEESX_SY_NST_IJLi5ELi6EEEES11_EEENST_IJLi5ELi7ELi6EEEElEENSB_INS5_IJSK_SP_SP_EEENS5_IJSU_SV_SW_EEENS5_IJS1P_SX_SY_EEENST_IJLi3ELi4EEEElEELi128ELi128ELi16ELi4ELi4ELi4ELi1ENST_IJLi8ELi2EEEES1Z_NST_IJLi8ELi1ELi1ELi4EEEENST_IJLi2ELi1ELi128ELi1EEEENST_IJLi1ELi2ELi0ELi3EEEES22_NST_IJLi4ELi1ELi1ELi4EEEES22_NST_IJLi1ELi1ELi1ELi4EEEES20_S21_S22_S22_S23_S22_S24_NST_IJLi0ELi1ELi2ELi3ELi4ELi5EEEELi5ELi4EEEaNS5_IJPKaEEEaS8_S8_S9_NSB_INS5_IJSE_SG_SI_SI_SI_SG_SG_SK_SK_SK_SG_SN_SN_SP_SP_SR_SG_SG_NSQ_INS5_IJiNS_17integral_constantIiLi128EEEEEELb0EEENSF_INS2A_IiLi4EEEEEEEENS5_IJSU_SV_SW_SX_SY_SZ_S10_S11_S12_S13_S14_S15_S16_S17_S18_S19_S1A_NST_IJLi23EEEES1J_NST_IJLi24EEEEEEENS5_IJS1C_S10_S11_S12_S13_S14_S1D_S1E_S1F_S1G_S1H_S17_S18_S1A_S19_S1I_S1J_NST_IJLi26EEEENST_IJLi27ELi28EEEENST_IJLi29EEEEEEENST_IJLi26ELi27ELi28ELi29EEEElEENSB_INS5_IJSR_SP_SP_SR_SG_SG_S2D_S2F_EEENS5_IJSU_SV_SW_SY_SX_SZ_S11_S10_EEENS5_IJS1P_SX_SY_S1Q_S11_S12_NST_IJLi9ELi10EEEES1D_EEENST_IJLi8ELi9ELi10ELi11EEEElEENS5_IJNSB_INS5_IJSK_SP_SP_NSQ_INS5_IJiNS2A_IiLi2EEENS2A_IiLi64EEEEEELb0EEES2Z_EEENS5_IJSU_SV_SW_SX_SY_EEENS5_IJS1P_SX_SY_NST_IJLi5ELi6ELi7EEEENST_IJLi8ELi9ELi10EEEEEEENST_IJLi5ELi6ELi7ELi8ELi9ELi10EEEElEEEEES36_NS_31BlockToCTileMap_M00_N00_M01_N01ILi128ELi128ES1Y_Lb0EEENS1_30ComputePtrOffsetOfStridedBatchILi1ELi1ELi1EvEELb1ELb1EEEvPKT0_S3E_T1_PT2_T3_T4_T5_iT6_T7_T8_T9_T10_T11_ ; -- Begin function _ZN2ck16tensor_operation6device12_GLOBAL__N_137kernel_grouped_conv_fwd_dl_multiple_dINS_32GridwiseGemmDlMultipleD_km_kn_mnILi256EaiNS_5TupleIJaEEEaNS0_12element_wise11PassThroughES8_NS7_7AddReluELNS_25InMemoryDataOperationEnumE0ENS_16TensorDescriptorINS5_IJNS_5EmbedINS5_IJiiiiiEEESD_Lb0EEENS_11PassThroughIiEENS_3PadIiiiLb0EEESI_SI_SG_SG_NSC_INS5_IJiiEEESJ_Lb0EEESK_SK_SG_NS_23Merge_v2_magic_divisionINS5_IJiiiiEEEEESN_NS_8RightPadIiiLb0EEESP_NS_7UnMergeISJ_Lb0EEESG_EEENS5_IJNS_8SequenceIJLi0EEEENST_IJLi1EEEENST_IJLi2EEEENST_IJLi3EEEENST_IJLi4EEEENST_IJLi5EEEENST_IJLi6EEEENST_IJLi7EEEENST_IJLi8EEEENST_IJLi9EEEENST_IJLi10EEEENST_IJLi11ELi13ELi15ELi17EEEENST_IJLi12ELi14ELi16ELi18EEEENST_IJLi19EEEENST_IJLi20EEEENST_IJLi22EEEENST_IJLi21EEEEEEENS5_IJNST_IJLi1ELi2ELi3ELi4ELi5EEEES10_S11_S12_S13_S14_NST_IJLi11EEEENST_IJLi12ELi13EEEENST_IJLi14ELi15EEEENST_IJLi16ELi17EEEENST_IJLi18EEEES17_S18_S1A_S19_NST_IJLi23ELi24EEEENST_IJLi25EEEEEEENST_IJLi23ELi25ELi24EEEElEENSB_INS5_IJSR_SP_SP_SR_SG_EEENS5_IJSU_SV_SW_SY_SX_EEENS5_IJNST_IJLi1ELi2EEEESX_SY_NST_IJLi5ELi6EEEES11_EEENST_IJLi5ELi7ELi6EEEElEENSB_INS5_IJSK_SP_SP_EEENS5_IJSU_SV_SW_EEENS5_IJS1P_SX_SY_EEENST_IJLi3ELi4EEEElEELi128ELi128ELi16ELi4ELi4ELi4ELi1ENST_IJLi8ELi2EEEES1Z_NST_IJLi8ELi1ELi1ELi4EEEENST_IJLi2ELi1ELi128ELi1EEEENST_IJLi1ELi2ELi0ELi3EEEES22_NST_IJLi4ELi1ELi1ELi4EEEES22_NST_IJLi1ELi1ELi1ELi4EEEES20_S21_S22_S22_S23_S22_S24_NST_IJLi0ELi1ELi2ELi3ELi4ELi5EEEELi5ELi4EEEaNS5_IJPKaEEEaS8_S8_S9_NSB_INS5_IJSE_SG_SI_SI_SI_SG_SG_SK_SK_SK_SG_SN_SN_SP_SP_SR_SG_SG_NSQ_INS5_IJiNS_17integral_constantIiLi128EEEEEELb0EEENSF_INS2A_IiLi4EEEEEEEENS5_IJSU_SV_SW_SX_SY_SZ_S10_S11_S12_S13_S14_S15_S16_S17_S18_S19_S1A_NST_IJLi23EEEES1J_NST_IJLi24EEEEEEENS5_IJS1C_S10_S11_S12_S13_S14_S1D_S1E_S1F_S1G_S1H_S17_S18_S1A_S19_S1I_S1J_NST_IJLi26EEEENST_IJLi27ELi28EEEENST_IJLi29EEEEEEENST_IJLi26ELi27ELi28ELi29EEEElEENSB_INS5_IJSR_SP_SP_SR_SG_SG_S2D_S2F_EEENS5_IJSU_SV_SW_SY_SX_SZ_S11_S10_EEENS5_IJS1P_SX_SY_S1Q_S11_S12_NST_IJLi9ELi10EEEES1D_EEENST_IJLi8ELi9ELi10ELi11EEEElEENS5_IJNSB_INS5_IJSK_SP_SP_NSQ_INS5_IJiNS2A_IiLi2EEENS2A_IiLi64EEEEEELb0EEES2Z_EEENS5_IJSU_SV_SW_SX_SY_EEENS5_IJS1P_SX_SY_NST_IJLi5ELi6ELi7EEEENST_IJLi8ELi9ELi10EEEEEEENST_IJLi5ELi6ELi7ELi8ELi9ELi10EEEElEEEEES36_NS_31BlockToCTileMap_M00_N00_M01_N01ILi128ELi128ES1Y_Lb0EEENS1_30ComputePtrOffsetOfStridedBatchILi1ELi1ELi1EvEELb1ELb1EEEvPKT0_S3E_T1_PT2_T3_T4_T5_iT6_T7_T8_T9_T10_T11_
	.p2align	8
	.type	_ZN2ck16tensor_operation6device12_GLOBAL__N_137kernel_grouped_conv_fwd_dl_multiple_dINS_32GridwiseGemmDlMultipleD_km_kn_mnILi256EaiNS_5TupleIJaEEEaNS0_12element_wise11PassThroughES8_NS7_7AddReluELNS_25InMemoryDataOperationEnumE0ENS_16TensorDescriptorINS5_IJNS_5EmbedINS5_IJiiiiiEEESD_Lb0EEENS_11PassThroughIiEENS_3PadIiiiLb0EEESI_SI_SG_SG_NSC_INS5_IJiiEEESJ_Lb0EEESK_SK_SG_NS_23Merge_v2_magic_divisionINS5_IJiiiiEEEEESN_NS_8RightPadIiiLb0EEESP_NS_7UnMergeISJ_Lb0EEESG_EEENS5_IJNS_8SequenceIJLi0EEEENST_IJLi1EEEENST_IJLi2EEEENST_IJLi3EEEENST_IJLi4EEEENST_IJLi5EEEENST_IJLi6EEEENST_IJLi7EEEENST_IJLi8EEEENST_IJLi9EEEENST_IJLi10EEEENST_IJLi11ELi13ELi15ELi17EEEENST_IJLi12ELi14ELi16ELi18EEEENST_IJLi19EEEENST_IJLi20EEEENST_IJLi22EEEENST_IJLi21EEEEEEENS5_IJNST_IJLi1ELi2ELi3ELi4ELi5EEEES10_S11_S12_S13_S14_NST_IJLi11EEEENST_IJLi12ELi13EEEENST_IJLi14ELi15EEEENST_IJLi16ELi17EEEENST_IJLi18EEEES17_S18_S1A_S19_NST_IJLi23ELi24EEEENST_IJLi25EEEEEEENST_IJLi23ELi25ELi24EEEElEENSB_INS5_IJSR_SP_SP_SR_SG_EEENS5_IJSU_SV_SW_SY_SX_EEENS5_IJNST_IJLi1ELi2EEEESX_SY_NST_IJLi5ELi6EEEES11_EEENST_IJLi5ELi7ELi6EEEElEENSB_INS5_IJSK_SP_SP_EEENS5_IJSU_SV_SW_EEENS5_IJS1P_SX_SY_EEENST_IJLi3ELi4EEEElEELi128ELi128ELi16ELi4ELi4ELi4ELi1ENST_IJLi8ELi2EEEES1Z_NST_IJLi8ELi1ELi1ELi4EEEENST_IJLi2ELi1ELi128ELi1EEEENST_IJLi1ELi2ELi0ELi3EEEES22_NST_IJLi4ELi1ELi1ELi4EEEES22_NST_IJLi1ELi1ELi1ELi4EEEES20_S21_S22_S22_S23_S22_S24_NST_IJLi0ELi1ELi2ELi3ELi4ELi5EEEELi5ELi4EEEaNS5_IJPKaEEEaS8_S8_S9_NSB_INS5_IJSE_SG_SI_SI_SI_SG_SG_SK_SK_SK_SG_SN_SN_SP_SP_SR_SG_SG_NSQ_INS5_IJiNS_17integral_constantIiLi128EEEEEELb0EEENSF_INS2A_IiLi4EEEEEEEENS5_IJSU_SV_SW_SX_SY_SZ_S10_S11_S12_S13_S14_S15_S16_S17_S18_S19_S1A_NST_IJLi23EEEES1J_NST_IJLi24EEEEEEENS5_IJS1C_S10_S11_S12_S13_S14_S1D_S1E_S1F_S1G_S1H_S17_S18_S1A_S19_S1I_S1J_NST_IJLi26EEEENST_IJLi27ELi28EEEENST_IJLi29EEEEEEENST_IJLi26ELi27ELi28ELi29EEEElEENSB_INS5_IJSR_SP_SP_SR_SG_SG_S2D_S2F_EEENS5_IJSU_SV_SW_SY_SX_SZ_S11_S10_EEENS5_IJS1P_SX_SY_S1Q_S11_S12_NST_IJLi9ELi10EEEES1D_EEENST_IJLi8ELi9ELi10ELi11EEEElEENS5_IJNSB_INS5_IJSK_SP_SP_NSQ_INS5_IJiNS2A_IiLi2EEENS2A_IiLi64EEEEEELb0EEES2Z_EEENS5_IJSU_SV_SW_SX_SY_EEENS5_IJS1P_SX_SY_NST_IJLi5ELi6ELi7EEEENST_IJLi8ELi9ELi10EEEEEEENST_IJLi5ELi6ELi7ELi8ELi9ELi10EEEElEEEEES36_NS_31BlockToCTileMap_M00_N00_M01_N01ILi128ELi128ES1Y_Lb0EEENS1_30ComputePtrOffsetOfStridedBatchILi1ELi1ELi1EvEELb1ELb1EEEvPKT0_S3E_T1_PT2_T3_T4_T5_iT6_T7_T8_T9_T10_T11_,@function
_ZN2ck16tensor_operation6device12_GLOBAL__N_137kernel_grouped_conv_fwd_dl_multiple_dINS_32GridwiseGemmDlMultipleD_km_kn_mnILi256EaiNS_5TupleIJaEEEaNS0_12element_wise11PassThroughES8_NS7_7AddReluELNS_25InMemoryDataOperationEnumE0ENS_16TensorDescriptorINS5_IJNS_5EmbedINS5_IJiiiiiEEESD_Lb0EEENS_11PassThroughIiEENS_3PadIiiiLb0EEESI_SI_SG_SG_NSC_INS5_IJiiEEESJ_Lb0EEESK_SK_SG_NS_23Merge_v2_magic_divisionINS5_IJiiiiEEEEESN_NS_8RightPadIiiLb0EEESP_NS_7UnMergeISJ_Lb0EEESG_EEENS5_IJNS_8SequenceIJLi0EEEENST_IJLi1EEEENST_IJLi2EEEENST_IJLi3EEEENST_IJLi4EEEENST_IJLi5EEEENST_IJLi6EEEENST_IJLi7EEEENST_IJLi8EEEENST_IJLi9EEEENST_IJLi10EEEENST_IJLi11ELi13ELi15ELi17EEEENST_IJLi12ELi14ELi16ELi18EEEENST_IJLi19EEEENST_IJLi20EEEENST_IJLi22EEEENST_IJLi21EEEEEEENS5_IJNST_IJLi1ELi2ELi3ELi4ELi5EEEES10_S11_S12_S13_S14_NST_IJLi11EEEENST_IJLi12ELi13EEEENST_IJLi14ELi15EEEENST_IJLi16ELi17EEEENST_IJLi18EEEES17_S18_S1A_S19_NST_IJLi23ELi24EEEENST_IJLi25EEEEEEENST_IJLi23ELi25ELi24EEEElEENSB_INS5_IJSR_SP_SP_SR_SG_EEENS5_IJSU_SV_SW_SY_SX_EEENS5_IJNST_IJLi1ELi2EEEESX_SY_NST_IJLi5ELi6EEEES11_EEENST_IJLi5ELi7ELi6EEEElEENSB_INS5_IJSK_SP_SP_EEENS5_IJSU_SV_SW_EEENS5_IJS1P_SX_SY_EEENST_IJLi3ELi4EEEElEELi128ELi128ELi16ELi4ELi4ELi4ELi1ENST_IJLi8ELi2EEEES1Z_NST_IJLi8ELi1ELi1ELi4EEEENST_IJLi2ELi1ELi128ELi1EEEENST_IJLi1ELi2ELi0ELi3EEEES22_NST_IJLi4ELi1ELi1ELi4EEEES22_NST_IJLi1ELi1ELi1ELi4EEEES20_S21_S22_S22_S23_S22_S24_NST_IJLi0ELi1ELi2ELi3ELi4ELi5EEEELi5ELi4EEEaNS5_IJPKaEEEaS8_S8_S9_NSB_INS5_IJSE_SG_SI_SI_SI_SG_SG_SK_SK_SK_SG_SN_SN_SP_SP_SR_SG_SG_NSQ_INS5_IJiNS_17integral_constantIiLi128EEEEEELb0EEENSF_INS2A_IiLi4EEEEEEEENS5_IJSU_SV_SW_SX_SY_SZ_S10_S11_S12_S13_S14_S15_S16_S17_S18_S19_S1A_NST_IJLi23EEEES1J_NST_IJLi24EEEEEEENS5_IJS1C_S10_S11_S12_S13_S14_S1D_S1E_S1F_S1G_S1H_S17_S18_S1A_S19_S1I_S1J_NST_IJLi26EEEENST_IJLi27ELi28EEEENST_IJLi29EEEEEEENST_IJLi26ELi27ELi28ELi29EEEElEENSB_INS5_IJSR_SP_SP_SR_SG_SG_S2D_S2F_EEENS5_IJSU_SV_SW_SY_SX_SZ_S11_S10_EEENS5_IJS1P_SX_SY_S1Q_S11_S12_NST_IJLi9ELi10EEEES1D_EEENST_IJLi8ELi9ELi10ELi11EEEElEENS5_IJNSB_INS5_IJSK_SP_SP_NSQ_INS5_IJiNS2A_IiLi2EEENS2A_IiLi64EEEEEELb0EEES2Z_EEENS5_IJSU_SV_SW_SX_SY_EEENS5_IJS1P_SX_SY_NST_IJLi5ELi6ELi7EEEENST_IJLi8ELi9ELi10EEEEEEENST_IJLi5ELi6ELi7ELi8ELi9ELi10EEEElEEEEES36_NS_31BlockToCTileMap_M00_N00_M01_N01ILi128ELi128ES1Y_Lb0EEENS1_30ComputePtrOffsetOfStridedBatchILi1ELi1ELi1EvEELb1ELb1EEEvPKT0_S3E_T1_PT2_T3_T4_T5_iT6_T7_T8_T9_T10_T11_: ; @_ZN2ck16tensor_operation6device12_GLOBAL__N_137kernel_grouped_conv_fwd_dl_multiple_dINS_32GridwiseGemmDlMultipleD_km_kn_mnILi256EaiNS_5TupleIJaEEEaNS0_12element_wise11PassThroughES8_NS7_7AddReluELNS_25InMemoryDataOperationEnumE0ENS_16TensorDescriptorINS5_IJNS_5EmbedINS5_IJiiiiiEEESD_Lb0EEENS_11PassThroughIiEENS_3PadIiiiLb0EEESI_SI_SG_SG_NSC_INS5_IJiiEEESJ_Lb0EEESK_SK_SG_NS_23Merge_v2_magic_divisionINS5_IJiiiiEEEEESN_NS_8RightPadIiiLb0EEESP_NS_7UnMergeISJ_Lb0EEESG_EEENS5_IJNS_8SequenceIJLi0EEEENST_IJLi1EEEENST_IJLi2EEEENST_IJLi3EEEENST_IJLi4EEEENST_IJLi5EEEENST_IJLi6EEEENST_IJLi7EEEENST_IJLi8EEEENST_IJLi9EEEENST_IJLi10EEEENST_IJLi11ELi13ELi15ELi17EEEENST_IJLi12ELi14ELi16ELi18EEEENST_IJLi19EEEENST_IJLi20EEEENST_IJLi22EEEENST_IJLi21EEEEEEENS5_IJNST_IJLi1ELi2ELi3ELi4ELi5EEEES10_S11_S12_S13_S14_NST_IJLi11EEEENST_IJLi12ELi13EEEENST_IJLi14ELi15EEEENST_IJLi16ELi17EEEENST_IJLi18EEEES17_S18_S1A_S19_NST_IJLi23ELi24EEEENST_IJLi25EEEEEEENST_IJLi23ELi25ELi24EEEElEENSB_INS5_IJSR_SP_SP_SR_SG_EEENS5_IJSU_SV_SW_SY_SX_EEENS5_IJNST_IJLi1ELi2EEEESX_SY_NST_IJLi5ELi6EEEES11_EEENST_IJLi5ELi7ELi6EEEElEENSB_INS5_IJSK_SP_SP_EEENS5_IJSU_SV_SW_EEENS5_IJS1P_SX_SY_EEENST_IJLi3ELi4EEEElEELi128ELi128ELi16ELi4ELi4ELi4ELi1ENST_IJLi8ELi2EEEES1Z_NST_IJLi8ELi1ELi1ELi4EEEENST_IJLi2ELi1ELi128ELi1EEEENST_IJLi1ELi2ELi0ELi3EEEES22_NST_IJLi4ELi1ELi1ELi4EEEES22_NST_IJLi1ELi1ELi1ELi4EEEES20_S21_S22_S22_S23_S22_S24_NST_IJLi0ELi1ELi2ELi3ELi4ELi5EEEELi5ELi4EEEaNS5_IJPKaEEEaS8_S8_S9_NSB_INS5_IJSE_SG_SI_SI_SI_SG_SG_SK_SK_SK_SG_SN_SN_SP_SP_SR_SG_SG_NSQ_INS5_IJiNS_17integral_constantIiLi128EEEEEELb0EEENSF_INS2A_IiLi4EEEEEEEENS5_IJSU_SV_SW_SX_SY_SZ_S10_S11_S12_S13_S14_S15_S16_S17_S18_S19_S1A_NST_IJLi23EEEES1J_NST_IJLi24EEEEEEENS5_IJS1C_S10_S11_S12_S13_S14_S1D_S1E_S1F_S1G_S1H_S17_S18_S1A_S19_S1I_S1J_NST_IJLi26EEEENST_IJLi27ELi28EEEENST_IJLi29EEEEEEENST_IJLi26ELi27ELi28ELi29EEEElEENSB_INS5_IJSR_SP_SP_SR_SG_SG_S2D_S2F_EEENS5_IJSU_SV_SW_SY_SX_SZ_S11_S10_EEENS5_IJS1P_SX_SY_S1Q_S11_S12_NST_IJLi9ELi10EEEES1D_EEENST_IJLi8ELi9ELi10ELi11EEEElEENS5_IJNSB_INS5_IJSK_SP_SP_NSQ_INS5_IJiNS2A_IiLi2EEENS2A_IiLi64EEEEEELb0EEES2Z_EEENS5_IJSU_SV_SW_SX_SY_EEENS5_IJS1P_SX_SY_NST_IJLi5ELi6ELi7EEEENST_IJLi8ELi9ELi10EEEEEEENST_IJLi5ELi6ELi7ELi8ELi9ELi10EEEElEEEEES36_NS_31BlockToCTileMap_M00_N00_M01_N01ILi128ELi128ES1Y_Lb0EEENS1_30ComputePtrOffsetOfStridedBatchILi1ELi1ELi1EvEELb1ELb1EEEvPKT0_S3E_T1_PT2_T3_T4_T5_iT6_T7_T8_T9_T10_T11_
; %bb.0:
	s_clause 0x2
	s_load_b32 s2, s[0:1], 0x24
	s_load_b128 s[28:31], s[0:1], 0x3c
	s_load_b32 s63, s[0:1], 0x4c
	v_lshrrev_b32_e32 v20, 1, v0
	s_mov_b32 s39, 0x31004000
	v_dual_mov_b32 v83, 0 :: v_dual_lshlrev_b32 v22, 1, v0
	v_lshrrev_b32_e32 v21, 5, v0
	v_mov_b32_e32 v73, 0
	v_mov_b32_e32 v75, 0
	v_dual_mov_b32 v59, 0 :: v_dual_mov_b32 v58, 0
	s_delay_alu instid0(VALU_DEP_4)
	v_lshlrev_b32_e32 v23, 6, v21
	v_lshlrev_b32_e32 v21, 3, v21
	v_dual_mov_b32 v49, 0 :: v_dual_mov_b32 v60, 0
	v_dual_mov_b32 v53, 0 :: v_dual_mov_b32 v66, 0
	;; [unrolled: 1-line block ×3, first 2 shown]
	s_wait_kmcnt 0x0
	s_abs_i32 s3, s2
	v_dual_mov_b32 v65, 0 :: v_dual_mov_b32 v70, 0
	s_cvt_f32_u32 s4, s3
	s_sub_co_i32 s6, 0, s3
	v_dual_mov_b32 v61, 0 :: v_dual_mov_b32 v72, 0
	s_delay_alu instid0(SALU_CYCLE_1)
	v_rcp_iflag_f32_e32 v1, s4
	s_clause 0x1
	s_load_b32 s4, s[0:1], 0x300
	s_load_b128 s[12:15], s[0:1], 0x2c0
	v_dual_mov_b32 v67, 0 :: v_dual_mov_b32 v86, 0
	v_dual_mov_b32 v69, 0 :: v_dual_mov_b32 v88, 0
	;; [unrolled: 1-line block ×4, first 2 shown]
	s_delay_alu instid0(TRANS32_DEP_1)
	v_readfirstlane_b32 s5, v1
	v_dual_mov_b32 v85, 0 :: v_dual_mov_b32 v84, 0
	v_dual_mov_b32 v91, 0 :: v_dual_mov_b32 v100, 0
	s_mul_f32 s5, s5, 0x4f7ffffe
	v_dual_mov_b32 v79, 0 :: v_dual_mov_b32 v90, 0
	v_dual_mov_b32 v93, 0 :: v_dual_mov_b32 v92, 0
	s_wait_alu 0xfffe
	s_cvt_u32_f32 s5, s5
	s_wait_kmcnt 0x0
	s_abs_i32 s7, s4
	s_xor_b32 s2, s4, s2
	v_dual_mov_b32 v95, 0 :: v_dual_mov_b32 v102, 0
	s_wait_alu 0xfffe
	s_mul_i32 s6, s6, s5
	s_ashr_i32 s2, s2, 31
	s_mul_hi_u32 s6, s5, s6
	v_dual_mov_b32 v97, 0 :: v_dual_mov_b32 v104, 0
	s_add_co_i32 s5, s5, s6
	v_dual_mov_b32 v87, 0 :: v_dual_mov_b32 v94, 0
	s_wait_alu 0xfffe
	s_mul_hi_u32 s5, s7, s5
	v_dual_mov_b32 v89, 0 :: v_dual_mov_b32 v96, 0
	s_wait_alu 0xfffe
	s_mul_i32 s4, s5, s3
	s_add_co_i32 s6, s5, 1
	s_wait_alu 0xfffe
	s_sub_co_i32 s4, s7, s4
	v_dual_mov_b32 v101, 0 :: v_dual_mov_b32 v98, 0
	s_wait_alu 0xfffe
	s_sub_co_i32 s7, s4, s3
	s_cmp_ge_u32 s4, s3
	v_dual_mov_b32 v103, 0 :: v_dual_mov_b32 v106, 0
	s_cselect_b32 s5, s6, s5
	s_cselect_b32 s4, s7, s4
	s_wait_alu 0xfffe
	s_add_co_i32 s6, s5, 1
	s_cmp_ge_u32 s4, s3
	v_dual_mov_b32 v99, 0 :: v_dual_mov_b32 v108, 0
	s_cselect_b32 s3, s6, s5
	s_abs_i32 s19, ttmp9
	s_xor_b32 s3, s3, s2
	v_dual_mov_b32 v105, 0 :: v_dual_mov_b32 v82, 0
	s_sub_co_i32 s3, s3, s2
	v_dual_mov_b32 v107, 0 :: v_dual_mov_b32 v74, 0
	s_abs_i32 s16, s3
	s_xor_b32 s3, ttmp9, s3
	s_cvt_f32_u32 s2, s16
	s_sub_co_i32 s18, 0, s16
	s_ashr_i32 s3, s3, 31
	v_dual_mov_b32 v81, 0 :: v_dual_mov_b32 v76, 0
	v_rcp_iflag_f32_e32 v1, s2
	s_clause 0x7
	s_load_b128 s[8:11], s[0:1], 0x0
	s_load_b64 s[80:81], s[0:1], 0x18
	s_load_b32 s59, s[0:1], 0x58
	s_load_b96 s[56:58], s[0:1], 0x54
	s_load_b32 s55, s[0:1], 0x64
	s_load_b96 s[60:62], s[0:1], 0x60
	s_load_b96 s[44:46], s[0:1], 0x10c
	s_load_b32 s2, s[0:1], 0x120
	s_wait_kmcnt 0x0
	s_clause 0x9
	s_load_b32 s61, s[0:1], 0x12c
	s_load_b32 s71, s[0:1], 0x13c
	;; [unrolled: 1-line block ×3, first 2 shown]
	s_load_b64 s[76:77], s[0:1], 0x88
	s_load_b64 s[74:75], s[0:1], 0x98
	s_load_b96 s[64:66], s[0:1], 0x6c
	s_load_b64 s[78:79], s[0:1], 0xa8
	s_load_b96 s[24:26], s[0:1], 0xb8
	s_load_b96 s[48:50], s[0:1], 0xec
	;; [unrolled: 1-line block ×3, first 2 shown]
	v_mov_b32_e32 v51, 0
	s_mov_b32 s43, s39
	v_mov_b32_e32 v18, 0
	s_load_b32 s35, s[0:1], 0x28c
	v_readfirstlane_b32 s4, v1
	v_lshlrev_b32_e32 v1, 3, v0
	v_lshlrev_b32_e32 v0, 2, v0
	v_dual_mov_b32 v54, 0 :: v_dual_mov_b32 v19, 0
	s_mul_f32 s4, s4, 0x4f7ffffe
	s_delay_alu instid0(VALU_DEP_3)
	v_and_b32_e32 v32, 8, v1
	v_mov_b32_e32 v52, 0
	v_mov_b32_e32 v62, 0
	s_wait_alu 0xfffe
	s_cvt_u32_f32 s17, s4
	s_clause 0x1
	s_load_b128 s[20:23], s[0:1], 0x298
	s_load_b128 s[4:7], s[0:1], 0x2ac
	v_or_b32_e32 v1, 4, v32
	s_wait_kmcnt 0x0
	v_mul_lo_u32 v28, s71, v32
	s_mul_i32 s18, s18, s17
	s_clause 0x1
	s_load_b96 s[68:70], s[0:1], 0xc8
	s_load_b96 s[40:42], s[0:1], 0xd8
	s_mul_hi_u32 s18, s17, s18
	v_mul_lo_u32 v33, s71, v1
	s_add_co_i32 s17, s17, s18
	v_or_b32_e32 v42, 20, v32
	s_mul_hi_u32 s17, s19, s17
	v_mul_hi_u32 v1, v28, s54
	s_mul_i32 s18, s17, s16
	v_or_b32_e32 v43, 16, v32
	s_sub_co_i32 s18, s19, s18
	s_add_co_i32 s19, s17, 1
	s_sub_co_i32 s27, s18, s16
	s_cmp_ge_u32 s18, s16
	v_mul_hi_u32 v2, v33, s54
	s_cselect_b32 s17, s19, s17
	s_cselect_b32 s18, s27, s18
	s_add_co_i32 s19, s17, 1
	s_cmp_ge_u32 s18, s16
	s_mul_hi_u32 s7, s7, ttmp9
	s_cselect_b32 s27, s19, s17
	s_add_co_i32 s7, ttmp9, s7
	v_add_nc_u32_e32 v1, v28, v1
	s_lshr_b32 s33, s7, s15
	s_load_b32 s7, s[0:1], 0x27c
	s_mul_hi_u32 s6, s33, s6
	v_add_nc_u32_e32 v2, v33, v2
	s_add_co_i32 s6, s33, s6
	v_lshrrev_b32_e32 v1, s46, v1
	s_lshr_b32 s34, s6, s14
	s_mov_b32 s67, s53
	s_mul_hi_u32 s5, s34, s5
	v_lshrrev_b32_e32 v2, s46, v2
	s_wait_alu 0xfffe
	s_add_co_i32 s5, s34, s5
	s_mul_i32 s6, s34, s22
	s_wait_alu 0xfffe
	s_lshr_b32 s5, s5, s13
	s_sub_co_i32 s47, s33, s6
	s_wait_alu 0xfffe
	s_mul_hi_u32 s4, s5, s4
	v_mul_hi_u32 v3, v1, s53
	s_wait_alu 0xfffe
	s_add_co_i32 s4, s5, s4
	v_mul_hi_u32 v4, v2, s53
	s_wait_alu 0xfffe
	s_lshr_b32 s4, s4, s12
	v_mul_lo_u32 v7, v2, s50
	s_wait_alu 0xfffe
	s_mul_i32 s4, s4, s20
	v_mul_lo_u32 v6, v1, s50
	s_wait_alu 0xfffe
	s_sub_co_i32 s4, s5, s4
	v_add_nc_u32_e32 v3, v1, v3
	s_wait_kmcnt 0x0
	s_wait_alu 0xfffe
	s_mul_i32 s4, s4, s7
	v_add_nc_u32_e32 v4, v2, v4
	s_wait_alu 0xfffe
	s_add_co_i32 s47, s47, s4
	v_mov_b32_e32 v50, 0
	s_wait_alu 0xfffe
	v_lshl_or_b32 v30, s47, 7, v20
	v_lshrrev_b32_e32 v3, s45, v3
	v_lshrrev_b32_e32 v4, s45, v4
	v_sub_nc_u32_e32 v34, v33, v7
	s_clause 0x6
	s_load_b32 s83, s[0:1], 0x198
	s_load_b32 s38, s[0:1], 0x160
	;; [unrolled: 1-line block ×6, first 2 shown]
	s_load_b64 s[72:73], s[0:1], 0x1d0
	v_mul_hi_u32 v5, v30, s70
	v_mul_hi_u32 v9, v3, s52
	;; [unrolled: 1-line block ×3, first 2 shown]
	v_mul_lo_u32 v11, v4, s49
	v_mul_lo_u32 v8, v3, s49
	s_load_b256 s[12:19], s[0:1], 0x2d8
	s_xor_b32 s4, s27, s3
	s_mul_i32 s5, s5, s21
	v_add_nc_u32_e32 v5, v30, v5
	v_add_nc_u32_e32 v7, v3, v9
	;; [unrolled: 1-line block ×3, first 2 shown]
	v_sub_nc_u32_e32 v25, v2, v11
	v_sub_nc_u32_e32 v1, v1, v8
	v_lshrrev_b32_e32 v5, s42, v5
	v_mov_b32_e32 v55, 0
	v_lshrrev_b32_e32 v26, s44, v9
	v_lshrrev_b32_e32 v7, s44, v7
	v_sub_nc_u32_e32 v9, v25, v1
	v_mul_hi_u32 v2, v5, s69
	v_mul_lo_u32 v1, v1, s78
	v_mul_lo_u32 v11, v26, s48
	;; [unrolled: 1-line block ×4, first 2 shown]
	v_sub_nc_u32_e32 v12, v26, v7
	s_mul_i32 s33, s33, s23
	v_sub_nc_u32_e32 v6, v28, v6
	v_add_nc_u32_e32 v2, v5, v2
	s_sub_co_i32 s51, ttmp9, s33
	v_sub_nc_u32_e32 v27, v4, v11
	v_mul_lo_u32 v114, v12, s76
	v_mul_lo_u32 v12, v5, s26
	v_lshrrev_b32_e32 v9, s41, v2
	v_sub_nc_u32_e32 v10, v3, v10
	v_mov_b32_e32 v57, 0
	v_mul_lo_u32 v2, v7, s76
	v_mul_lo_u32 v8, v6, s63
	v_mul_hi_u32 v4, v9, s68
	v_mul_lo_u32 v13, v9, s25
	v_mul_lo_u32 v3, v10, s74
	s_wait_alu 0xfffe
	s_sub_co_i32 s68, s4, s3
	s_sub_co_i32 s3, s34, s5
	v_sub_nc_u32_e32 v10, v27, v10
	s_wait_alu 0xfffe
	s_mul_i32 s3, s3, s35
	v_sub_nc_u32_e32 v6, v34, v6
	v_add_nc_u32_e32 v4, v9, v4
	v_sub_nc_u32_e32 v5, v5, v13
	s_wait_alu 0xfffe
	s_add_co_i32 s51, s51, s3
	s_wait_kmcnt 0x0
	v_mul_lo_u32 v29, s83, v32
	s_wait_alu 0xfffe
	v_lshl_or_b32 v115, s51, 7, v20
	v_lshrrev_b32_e32 v17, s40, v4
	v_sub_nc_u32_e32 v4, v30, v12
	v_mul_lo_u32 v116, v10, s74
	s_ashr_i32 s69, s68, 31
	v_mul_lo_u32 v31, v115, s20
	v_mul_lo_u32 v12, v17, s24
	v_mad_co_u64_u32 v[13:14], null, v4, s79, v[1:2]
	v_mad_co_u64_u32 v[14:15], null, v5, s75, v[3:4]
	v_mul_lo_u32 v6, v6, s63
	v_mul_lo_u32 v7, v113, s31
	;; [unrolled: 1-line block ×3, first 2 shown]
	v_sub_nc_u32_e32 v1, v9, v12
	v_mul_lo_u32 v10, v17, s28
	s_wait_alu 0xfffe
	s_mul_u64 s[4:5], s[14:15], s[68:69]
	v_dual_mov_b32 v64, 0 :: v_dual_add_nc_u32 v5, v31, v29
	v_mad_co_u64_u32 v[15:16], null, v1, s77, v[2:3]
	v_subrev_nc_u32_e32 v1, s57, v13
	v_subrev_nc_u32_e32 v2, s55, v14
	s_wait_alu 0xfffe
	s_add_nc_u64 s[40:41], s[10:11], s[4:5]
	s_mov_b32 s7, s39
	s_wait_alu 0xfffe
	s_and_b32 s41, s41, 0xffff
	v_mul_lo_u32 v9, v1, s31
	v_mul_lo_u32 v12, v2, s30
	v_subrev_nc_u32_e32 v16, s59, v15
	s_mov_b32 s4, s40
	s_wait_alu 0xfffe
	s_mov_b32 s5, s41
	s_lshl_b32 s24, s83, 2
	v_add3_u32 v11, v7, v6, v11
	v_mul_lo_u32 v16, v16, s29
	buffer_load_b128 v[1:4], v5, s[4:7], null offen
	v_add3_u32 v8, v9, v8, v12
	v_mul_lo_u32 v9, v116, s30
	v_dual_mov_b32 v56, 0 :: v_dual_add_nc_u32 v5, s24, v5
	s_mul_u64 s[10:11], s[12:13], s[68:69]
	v_mul_lo_u32 v38, s83, v42
	v_add3_u32 v10, v8, v10, v16
	s_add_nc_u64 s[36:37], s[8:9], s[10:11]
	buffer_load_b128 v[5:8], v5, s[4:7], null offen
	s_and_b32 s37, s37, 0xffff
	v_mul_lo_u32 v42, s71, v42
	v_add3_u32 v48, v11, v9, v10
	s_clause 0x1
	buffer_load_b128 v[9:12], v10, s[36:39], null offen
	buffer_load_b128 v[109:112], v48, s[36:39], null offen
	s_clause 0x3
	s_load_b32 s15, s[0:1], 0x22c
	s_load_b32 s28, s[0:1], 0x238
	s_load_b64 s[22:23], s[0:1], 0x260
	s_load_b32 s7, s[0:1], 0x148
	v_lshlrev_b32_e32 v20, 2, v20
	v_dual_mov_b32 v46, v42 :: v_dual_and_b32 v35, 0x1f8, v22
	v_mul_lo_u32 v39, s83, v43
	v_mul_lo_u32 v43, s71, v43
	s_delay_alu instid0(VALU_DEP_4) | instskip(NEXT) | instid1(VALU_DEP_4)
	v_lshl_or_b32 v24, v32, 9, v20
	v_sub_nc_u32_e32 v20, v35, v23
	v_or_b32_e32 v35, 32, v32
	v_cmp_gt_i32_e64 s5, s65, v29
	s_mov_b32 s20, s54
	s_sub_co_i32 s54, s64, s66
	v_cmp_gt_i32_e64 s3, s61, v28
	v_mul_lo_u32 v37, s83, v35
	v_mul_lo_u32 v41, s71, v35
	v_add_nc_u32_e32 v35, s24, v29
	v_add_nc_u32_e32 v29, v13, v113
	s_sub_co_i32 s53, s56, s58
	v_cmp_gt_i32_e64 s4, s61, v33
	s_wait_kmcnt 0x0
	s_clause 0x3
	s_load_b32 s23, s[0:1], 0x1dc
	s_load_b32 s33, s[0:1], 0x1e8
	s_load_b64 s[26:27], s[0:1], 0x210
	s_load_b64 s[34:35], s[0:1], 0x220
	s_sub_co_i32 s56, s7, 32
	v_cmp_gt_i32_e64 s7, s54, v13
	v_cmp_gt_i32_e64 s8, s54, v29
	v_dual_mov_b32 v47, v43 :: v_dual_add_nc_u32 v28, v14, v116
	s_wait_kmcnt 0x0
	s_sub_co_i32 s27, s60, s62
	v_cmp_le_i32_e64 s9, s57, v13
	s_and_b32 s10, s7, s3
	v_cmp_le_i32_e64 s3, s57, v29
	s_and_b32 s8, s8, s4
	v_cmp_le_i32_e64 s4, s55, v14
	s_wait_alu 0xfffe
	v_cmp_gt_i32_e64 s7, s27, v14
	s_and_b32 s9, s10, s9
	s_and_b32 s10, s8, s3
	v_cmp_le_i32_e64 s3, s55, v28
	v_cmp_gt_i32_e64 s8, s27, v28
	v_cmp_gt_i32_e64 s2, s2, v30
	s_and_b32 s11, s4, s7
	v_cmp_le_i32_e64 s4, s59, v15
	v_cmp_gt_i32_e64 s7, s53, v15
	v_add_nc_u32_e32 v30, v15, v114
	v_and_or_b32 v23, v22, 4, v21
	v_or_b32_e32 v21, 36, v32
	v_cmp_gt_i32_e32 vcc_lo, s82, v115
	s_and_b32 s3, s3, s8
	s_and_b32 s8, s9, s11
	s_wait_alu 0xfffe
	s_and_b32 s9, s10, s3
	s_and_b32 s7, s4, s7
	v_cmp_le_i32_e64 s3, s59, v30
	v_cmp_gt_i32_e64 s4, s53, v30
	s_mov_b32 s42, s6
	v_mul_lo_u32 v40, s71, v21
	v_cmp_gt_i32_e64 s6, s65, v35
	s_and_b32 s5, s5, vcc_lo
	v_and_or_b32 v22, v0, 4, v20
	s_and_b32 s3, s3, s4
	v_mul_lo_u32 v36, s83, v21
	s_and_b32 s4, s8, s7
	v_dual_mov_b32 v16, 0 :: v_dual_mov_b32 v17, 0
	v_dual_mov_b32 v45, v41 :: v_dual_lshlrev_b32 v20, 2, v23
	v_dual_mov_b32 v44, v40 :: v_dual_lshlrev_b32 v21, 2, v22
	s_mov_b32 s25, 0
	s_mov_b32 s77, 0
	s_mul_i32 s70, s71, 12
	s_mul_i32 s75, s83, 12
	s_lshl_b32 s21, s71, 2
	s_lshl_b32 s58, s83, 5
	;; [unrolled: 1-line block ×3, first 2 shown]
	s_sub_co_i32 s62, 0, s50
	s_wait_loadcnt 0x3
	s_wait_alu 0xfffe
	v_cndmask_b32_e64 v2, 0, v2, s5
	v_cndmask_b32_e64 v1, 0, v1, s5
	;; [unrolled: 1-line block ×4, first 2 shown]
	s_and_b32 s5, s9, s3
	s_and_b32 s3, s6, vcc_lo
	ds_store_2addr_stride64_b32 v24, v1, v2 offset0:64 offset1:66
	ds_store_2addr_stride64_b32 v24, v3, v0 offset0:68 offset1:70
	s_wait_loadcnt 0x2
	s_wait_alu 0xfffe
	v_cndmask_b32_e64 v0, 0, v8, s3
	v_cndmask_b32_e64 v1, 0, v7, s3
	;; [unrolled: 1-line block ×4, first 2 shown]
	s_and_b32 s3, s2, s4
	s_wait_loadcnt 0x1
	s_wait_alu 0xfffe
	v_cndmask_b32_e64 v4, 0, v12, s3
	v_cndmask_b32_e64 v5, 0, v11, s3
	;; [unrolled: 1-line block ×4, first 2 shown]
	s_and_b32 s3, s2, s5
	s_wait_loadcnt 0x0
	s_wait_alu 0xfffe
	v_cndmask_b32_e64 v9, 0, v110, s3
	v_cndmask_b32_e64 v10, 0, v109, s3
	v_cndmask_b32_e64 v8, 0, v112, s3
	v_cndmask_b32_e64 v11, 0, v111, s3
	ds_store_2addr_stride64_b32 v24, v3, v2 offset0:72 offset1:74
	ds_store_2addr_stride64_b32 v24, v7, v6 offset1:2
	ds_store_2addr_stride64_b32 v24, v5, v4 offset0:4 offset1:6
	ds_store_2addr_stride64_b32 v24, v10, v9 offset0:8 offset1:10
	;; [unrolled: 1-line block ×4, first 2 shown]
.LBB9_1:                                ; =>This Inner Loop Header: Depth=1
	v_mul_hi_u32 v11, s20, v47
	v_add_nc_u32_e32 v10, s25, v43
	v_mul_hi_u32 v12, s20, v46
	v_mul_hi_u32 v13, s20, v45
	;; [unrolled: 1-line block ×3, first 2 shown]
	v_add_nc_u32_e32 v8, s25, v42
	v_add_nc_u32_e32 v9, s25, v41
	;; [unrolled: 1-line block ×4, first 2 shown]
	v_cmp_gt_i32_e64 s3, s65, v39
	v_add_nc_u32_e32 v12, v8, v12
	v_add_nc_u32_e32 v13, v9, v13
	;; [unrolled: 1-line block ×3, first 2 shown]
	v_lshrrev_b32_e32 v112, s46, v11
	v_cmp_gt_i32_e64 s4, s65, v38
	v_lshrrev_b32_e32 v113, s46, v12
	v_lshrrev_b32_e32 v13, s46, v13
	;; [unrolled: 1-line block ×3, first 2 shown]
	v_mul_lo_u32 v114, s62, v112
	v_mul_hi_u32 v115, v112, s67
	s_add_co_i32 s7, s21, s70
	v_cmp_gt_i32_e64 s9, s61, v8
	s_wait_alu 0xfffe
	v_add3_u32 v33, s7, s7, v33
	s_and_b32 s7, vcc_lo, s3
	s_and_b32 s3, vcc_lo, s4
	v_cmp_gt_i32_e64 s4, s61, v9
	v_mad_co_u64_u32 v[11:12], null, s62, v113, v[8:9]
	v_mad_co_u64_u32 v[8:9], null, s62, v13, v[9:10]
	v_mul_hi_u32 v12, v113, s67
	v_mul_hi_u32 v9, v13, s67
	v_mul_lo_u32 v116, v14, s50
	v_mul_lo_u32 v109, s62, v14
	v_mul_hi_u32 v117, v14, s67
	v_add_nc_u32_e32 v118, v10, v114
	v_sub_nc_u32_e32 v114, v114, v34
	v_add_nc_u32_e32 v115, v112, v115
	s_add_co_i32 s8, s24, s75
	v_cmp_gt_i32_e64 s10, s61, v15
	s_wait_alu 0xfffe
	v_add3_u32 v35, s8, s8, v35
	v_cmp_gt_i32_e64 s8, s61, v10
	v_add_nc_u32_e32 v12, v113, v12
	v_add_nc_u32_e32 v9, v13, v9
	v_sub_nc_u32_e32 v34, v33, v116
	v_add_nc_u32_e32 v15, v15, v109
	v_add_nc_u32_e32 v116, v14, v117
	;; [unrolled: 1-line block ×3, first 2 shown]
	v_lshrrev_b32_e32 v114, s45, v115
	v_sub_nc_u32_e32 v119, v8, v11
	v_lshrrev_b32_e32 v12, s45, v12
	v_lshrrev_b32_e32 v9, s45, v9
	v_sub_nc_u32_e32 v8, v15, v8
	v_lshrrev_b32_e32 v15, s45, v116
	v_mul_lo_u32 v116, v114, s49
	v_mul_hi_u32 v117, v114, s52
	v_sub_nc_u32_e32 v11, v11, v118
	v_mul_lo_u32 v115, v119, s63
	v_mul_lo_u32 v118, v12, s49
	v_mul_hi_u32 v119, v12, s52
	v_mul_hi_u32 v121, v9, s52
	v_mul_lo_u32 v120, v9, s49
	v_mul_hi_u32 v123, v15, s52
	v_sub_nc_u32_e32 v112, v112, v116
	v_add_nc_u32_e32 v116, v114, v117
	v_mul_lo_u32 v122, v15, s49
	v_sub_nc_u32_e32 v113, v113, v118
	v_add_nc_u32_e32 v117, v12, v119
	v_add_nc_u32_e32 v118, v9, v121
	v_lshrrev_b32_e32 v116, s44, v116
	v_sub_nc_u32_e32 v13, v13, v120
	v_sub_nc_u32_e32 v120, v112, v25
	v_add_nc_u32_e32 v119, v15, v123
	v_lshrrev_b32_e32 v117, s44, v117
	v_lshrrev_b32_e32 v118, s44, v118
	v_sub_nc_u32_e32 v25, v14, v122
	v_mul_lo_u32 v14, v116, s48
	v_mul_lo_u32 v120, v120, s78
	v_sub_nc_u32_e32 v112, v113, v112
	v_sub_nc_u32_e32 v121, v116, v26
	v_lshrrev_b32_e32 v26, s44, v119
	v_mul_lo_u32 v122, v117, s48
	v_mul_lo_u32 v123, v118, s48
	v_sub_nc_u32_e32 v113, v13, v113
	v_sub_nc_u32_e32 v116, v117, v116
	v_mul_lo_u32 v112, v112, s78
	v_mul_lo_u32 v119, v121, s76
	v_mul_lo_u32 v121, v26, s48
	v_sub_nc_u32_e32 v14, v114, v14
	v_mul_lo_u32 v10, v10, s63
	v_sub_nc_u32_e32 v117, v118, v117
	v_mul_lo_u32 v114, v120, s31
	v_add_nc_u32_e32 v29, v120, v29
	v_mul_lo_u32 v113, v113, s78
	v_sub_nc_u32_e32 v13, v25, v13
	v_mul_lo_u32 v116, v116, s76
	v_sub_nc_u32_e32 v118, v26, v118
	v_sub_nc_u32_e32 v12, v12, v122
	;; [unrolled: 1-line block ×4, first 2 shown]
	v_mul_lo_u32 v117, v117, s76
	v_add_nc_u32_e32 v30, v119, v30
	v_cmp_le_i32_e64 s11, s57, v29
	v_cmp_gt_i32_e64 s12, s54, v29
	v_add_nc_u32_e32 v29, v112, v29
	v_sub_nc_u32_e32 v27, v15, v121
	v_mul_lo_u32 v13, v13, s78
	v_mul_lo_u32 v118, v118, s76
	v_sub_nc_u32_e32 v14, v12, v14
	v_add3_u32 v10, v10, v48, v114
	v_mul_lo_u32 v114, v123, s74
	v_mul_lo_u32 v11, v11, s63
	;; [unrolled: 1-line block ×4, first 2 shown]
	v_sub_nc_u32_e32 v12, v9, v12
	s_and_b32 s64, s12, s8
	v_cmp_le_i32_e64 s8, s59, v30
	v_cmp_gt_i32_e64 s12, s53, v30
	v_cmp_le_i32_e64 s13, s57, v29
	v_cmp_gt_i32_e64 s14, s54, v29
	v_add_nc_u32_e32 v29, v113, v29
	v_sub_nc_u32_e32 v9, v27, v9
	v_mul_lo_u32 v122, v113, s31
	v_mul_lo_u32 v124, v117, s29
	;; [unrolled: 1-line block ×3, first 2 shown]
	v_add_nc_u32_e32 v30, v116, v30
	v_mul_lo_u32 v8, v8, s63
	v_mul_lo_u32 v119, v119, s29
	;; [unrolled: 1-line block ×4, first 2 shown]
	s_wait_alu 0xfffe
	s_and_b32 s79, s64, s11
	s_and_b32 s82, s8, s12
	v_cmp_le_i32_e64 s11, s57, v29
	v_cmp_gt_i32_e64 s12, s54, v29
	v_add_nc_u32_e32 v29, v13, v29
	v_mul_lo_u32 v13, v9, s74
	v_add_nc_u32_e32 v9, v114, v28
	v_mul_lo_u32 v28, v114, s30
	v_add3_u32 v120, v120, v11, v112
	s_and_b32 s14, s14, s9
	v_cmp_le_i32_e64 s8, s59, v30
	v_cmp_gt_i32_e64 s9, s53, v30
	v_add_nc_u32_e32 v11, v117, v30
	v_mul_lo_u32 v12, v12, s74
	v_add3_u32 v48, v122, v115, v124
	v_mul_lo_u32 v115, v14, s30
	s_and_b32 s83, s14, s13
	s_and_b32 s13, s12, s4
	v_cmp_gt_i32_e64 s12, s54, v29
	v_add3_u32 v112, v15, v8, v116
	s_and_b32 s14, s8, s9
	v_cmp_le_i32_e64 s4, s59, v11
	v_cmp_gt_i32_e64 s8, s53, v11
	v_add_nc_u32_e32 v30, v118, v11
	v_cmp_le_i32_e64 s9, s57, v29
	v_add_nc_u32_e32 v8, v14, v9
	v_add3_u32 v14, v10, v119, v28
	s_and_b32 s10, s12, s10
	v_add_nc_u32_e32 v0, v31, v39
	v_mul_lo_u32 v113, v12, s30
	s_and_b32 s64, s13, s11
	v_cmp_le_i32_e64 s11, s55, v9
	v_cmp_gt_i32_e64 s13, s27, v9
	s_and_b32 s66, s4, s8
	v_cmp_le_i32_e64 s4, s59, v30
	v_cmp_gt_i32_e64 s8, s53, v30
	s_wait_alu 0xfffe
	s_and_b32 s12, s10, s9
	v_cmp_le_i32_e64 s9, s55, v8
	v_cmp_gt_i32_e64 s10, s27, v8
	v_add_nc_u32_e32 v12, v12, v8
	v_add3_u32 v115, v120, v14, v115
	v_add_nc_u32_e32 v1, v31, v38
	s_clause 0x1
	buffer_load_b128 v[4:7], v0, s[40:43], null offen
	buffer_load_b128 v[0:3], v1, s[40:43], null offen
	v_mul_lo_u32 v114, v13, s30
	s_and_b32 s11, s11, s13
	s_and_b32 s13, s4, s8
	buffer_load_b128 v[8:11], v14, s[36:39], null offen
	s_and_b32 s10, s9, s10
	v_cmp_le_i32_e64 s8, s55, v12
	v_cmp_gt_i32_e64 s9, s27, v12
	v_add_nc_u32_e32 v28, v13, v12
	buffer_load_b128 v[12:15], v115, s[36:39], null offen
	s_wait_dscnt 0x0
	s_barrier_signal -1
	s_barrier_wait -1
	ds_load_b128 v[116:119], v20
	ds_load_b128 v[120:123], v21 offset:16384
	ds_load_b128 v[124:127], v21 offset:16640
	;; [unrolled: 1-line block ×17, first 2 shown]
	v_add_nc_u32_e32 v110, v31, v37
	v_add_nc_u32_e32 v111, v31, v36
	s_and_b32 s11, s79, s11
	s_and_b32 s79, s83, s10
	s_wait_alu 0xfffe
	s_and_b32 s4, s82, s11
	s_wait_dscnt 0xe
	v_dot4_i32_iu8 v61, v128, v124, v61 neg_lo:[1,1,0]
	v_dot4_i32_iu8 v194, v129, v125, v52 neg_lo:[1,1,0]
	;; [unrolled: 1-line block ×10, first 2 shown]
	s_wait_dscnt 0xa
	v_dot4_i32_iu8 v61, v144, v136, v61 neg_lo:[1,1,0]
	s_and_b32 s14, s14, s79
	v_dot4_i32_iu8 v99, v116, v124, v99 neg_lo:[1,1,0]
	v_dot4_i32_iu8 v108, v116, v120, v108 neg_lo:[1,1,0]
	;; [unrolled: 1-line block ×32, first 2 shown]
	ds_load_b128 v[77:80], v21 offset:18688
	v_dot4_i32_iu8 v69, v128, v120, v69 neg_lo:[1,1,0]
	v_dot4_i32_iu8 v68, v128, v121, v68 neg_lo:[1,1,0]
	;; [unrolled: 1-line block ×16, first 2 shown]
	ds_load_b128 v[62:65], v20 offset:2304
	v_dot4_i32_iu8 v121, v128, v125, v60 neg_lo:[1,1,0]
	v_dot4_i32_iu8 v122, v128, v126, v58 neg_lo:[1,1,0]
	;; [unrolled: 1-line block ×6, first 2 shown]
	ds_load_b128 v[16:19], v20 offset:2560
	ds_load_b128 v[49:52], v21 offset:18944
	v_dot4_i32_iu8 v108, v140, v132, v108 neg_lo:[1,1,0]
	v_dot4_i32_iu8 v107, v140, v133, v107 neg_lo:[1,1,0]
	;; [unrolled: 1-line block ×32, first 2 shown]
	ds_load_b128 v[53:56], v21 offset:19200
	v_dot4_i32_iu8 v131, v144, v132, v69 neg_lo:[1,1,0]
	v_dot4_i32_iu8 v140, v144, v133, v68 neg_lo:[1,1,0]
	;; [unrolled: 1-line block ×16, first 2 shown]
	ds_load_b128 v[57:60], v20 offset:2816
	v_dot4_i32_iu8 v121, v144, v137, v121 neg_lo:[1,1,0]
	v_dot4_i32_iu8 v122, v144, v138, v122 neg_lo:[1,1,0]
	v_dot4_i32_iu8 v123, v144, v139, v123 neg_lo:[1,1,0]
	v_dot4_i32_iu8 v128, v145, v136, v128 neg_lo:[1,1,0]
	v_dot4_i32_iu8 v135, v145, v137, v194 neg_lo:[1,1,0]
	v_dot4_i32_iu8 v144, v145, v138, v195 neg_lo:[1,1,0]
	v_dot4_i32_iu8 v129, v145, v139, v129 neg_lo:[1,1,0]
	v_dot4_i32_iu8 v145, v146, v136, v196 neg_lo:[1,1,0]
	v_dot4_i32_iu8 v130, v146, v139, v130 neg_lo:[1,1,0]
	v_dot4_i32_iu8 v136, v147, v136, v73 neg_lo:[1,1,0]
	v_dot4_i32_iu8 v194, v146, v137, v197 neg_lo:[1,1,0]
	v_dot4_i32_iu8 v195, v146, v138, v198 neg_lo:[1,1,0]
	v_dot4_i32_iu8 v74, v147, v137, v74 neg_lo:[1,1,0]
	v_dot4_i32_iu8 v75, v147, v138, v75 neg_lo:[1,1,0]
	v_dot4_i32_iu8 v76, v147, v139, v76 neg_lo:[1,1,0]
	ds_load_b128 v[66:69], v20 offset:3072
	ds_load_b128 v[70:73], v21 offset:19456
	s_wait_dscnt 0xf
	v_dot4_i32_iu8 v108, v156, v148, v108 neg_lo:[1,1,0]
	v_dot4_i32_iu8 v107, v156, v149, v107 neg_lo:[1,1,0]
	v_dot4_i32_iu8 v106, v156, v150, v106 neg_lo:[1,1,0]
	v_dot4_i32_iu8 v105, v156, v151, v105 neg_lo:[1,1,0]
	v_dot4_i32_iu8 v104, v157, v148, v104 neg_lo:[1,1,0]
	v_dot4_i32_iu8 v103, v157, v149, v103 neg_lo:[1,1,0]
	v_dot4_i32_iu8 v102, v157, v150, v102 neg_lo:[1,1,0]
	v_dot4_i32_iu8 v101, v157, v151, v101 neg_lo:[1,1,0]
	v_dot4_i32_iu8 v100, v158, v148, v100 neg_lo:[1,1,0]
	v_dot4_i32_iu8 v97, v158, v149, v97 neg_lo:[1,1,0]
	v_dot4_i32_iu8 v137, v158, v150, v95 neg_lo:[1,1,0]
	v_dot4_i32_iu8 v138, v158, v151, v93 neg_lo:[1,1,0]
	v_dot4_i32_iu8 v139, v159, v148, v91 neg_lo:[1,1,0]
	v_dot4_i32_iu8 v146, v159, v149, v88 neg_lo:[1,1,0]
	v_dot4_i32_iu8 v147, v159, v150, v86 neg_lo:[1,1,0]
	v_dot4_i32_iu8 v196, v159, v151, v85 neg_lo:[1,1,0]
	v_dot4_i32_iu8 v99, v156, v152, v99 neg_lo:[1,1,0]
	v_dot4_i32_iu8 v98, v156, v153, v98 neg_lo:[1,1,0]
	v_dot4_i32_iu8 v197, v156, v154, v96 neg_lo:[1,1,0]
	v_dot4_i32_iu8 v156, v156, v155, v94 neg_lo:[1,1,0]
	v_dot4_i32_iu8 v198, v157, v152, v92 neg_lo:[1,1,0]
	v_dot4_i32_iu8 v199, v157, v153, v90 neg_lo:[1,1,0]
	v_dot4_i32_iu8 v200, v157, v154, v89 neg_lo:[1,1,0]
	v_dot4_i32_iu8 v157, v157, v155, v87 neg_lo:[1,1,0]
	v_dot4_i32_iu8 v201, v158, v152, v84 neg_lo:[1,1,0]
	v_dot4_i32_iu8 v116, v158, v153, v116 neg_lo:[1,1,0]
	v_dot4_i32_iu8 v117, v158, v154, v117 neg_lo:[1,1,0]
	v_dot4_i32_iu8 v118, v158, v155, v118 neg_lo:[1,1,0]
	v_dot4_i32_iu8 v124, v159, v152, v124 neg_lo:[1,1,0]
	v_dot4_i32_iu8 v125, v159, v153, v125 neg_lo:[1,1,0]
	v_dot4_i32_iu8 v126, v159, v154, v126 neg_lo:[1,1,0]
	v_dot4_i32_iu8 v127, v159, v155, v127 neg_lo:[1,1,0]
	ds_load_b128 v[81:84], v21 offset:19712
	ds_load_b128 v[85:88], v20 offset:3328
	s_wait_dscnt 0x10
	v_dot4_i32_iu8 v131, v160, v148, v131 neg_lo:[1,1,0]
	v_dot4_i32_iu8 v140, v160, v149, v140 neg_lo:[1,1,0]
	v_dot4_i32_iu8 v141, v160, v150, v141 neg_lo:[1,1,0]
	v_dot4_i32_iu8 v142, v160, v151, v142 neg_lo:[1,1,0]
	v_dot4_i32_iu8 v119, v161, v148, v119 neg_lo:[1,1,0]
	v_dot4_i32_iu8 v143, v161, v149, v143 neg_lo:[1,1,0]
	v_dot4_i32_iu8 v158, v161, v150, v188 neg_lo:[1,1,0]
	v_dot4_i32_iu8 v159, v161, v151, v189 neg_lo:[1,1,0]
	v_dot4_i32_iu8 v188, v162, v148, v190 neg_lo:[1,1,0]
	v_dot4_i32_iu8 v189, v162, v149, v191 neg_lo:[1,1,0]
	v_dot4_i32_iu8 v190, v162, v150, v192 neg_lo:[1,1,0]
	v_dot4_i32_iu8 v191, v162, v151, v193 neg_lo:[1,1,0]
	v_dot4_i32_iu8 v120, v163, v148, v120 neg_lo:[1,1,0]
	v_dot4_i32_iu8 v132, v163, v149, v132 neg_lo:[1,1,0]
	v_dot4_i32_iu8 v133, v163, v150, v133 neg_lo:[1,1,0]
	v_dot4_i32_iu8 v134, v163, v151, v134 neg_lo:[1,1,0]
	v_dot4_i32_iu8 v61, v160, v152, v61 neg_lo:[1,1,0]
	;; [unrolled: 35-line block ×4, first 2 shown]
	v_dot4_i32_iu8 v128, v177, v168, v128 neg_lo:[1,1,0]
	v_dot4_i32_iu8 v129, v177, v171, v129 neg_lo:[1,1,0]
	v_dot4_i32_iu8 v145, v178, v168, v145 neg_lo:[1,1,0]
	v_dot4_i32_iu8 v130, v178, v171, v130 neg_lo:[1,1,0]
	v_dot4_i32_iu8 v136, v179, v168, v136 neg_lo:[1,1,0]
	v_dot4_i32_iu8 v165, v176, v169, v121 neg_lo:[1,1,0]
	v_dot4_i32_iu8 v166, v176, v170, v122 neg_lo:[1,1,0]
	v_dot4_i32_iu8 v167, v176, v171, v123 neg_lo:[1,1,0]
	v_dot4_i32_iu8 v135, v177, v169, v135 neg_lo:[1,1,0]
	v_dot4_i32_iu8 v144, v177, v170, v144 neg_lo:[1,1,0]
	v_dot4_i32_iu8 v148, v178, v169, v148 neg_lo:[1,1,0]
	v_dot4_i32_iu8 v149, v178, v170, v149 neg_lo:[1,1,0]
	v_dot4_i32_iu8 v74, v179, v169, v74 neg_lo:[1,1,0]
	v_dot4_i32_iu8 v75, v179, v170, v75 neg_lo:[1,1,0]
	v_dot4_i32_iu8 v76, v179, v171, v76 neg_lo:[1,1,0]
	ds_load_b128 v[105:108], v20 offset:4096
	ds_load_b128 v[116:119], v21 offset:20480
	s_wait_dscnt 0x10
	v_dot4_i32_iu8 v150, v180, v184, v150 neg_lo:[1,1,0]
	v_dot4_i32_iu8 v151, v180, v185, v151 neg_lo:[1,1,0]
	;; [unrolled: 1-line block ×16, first 2 shown]
	s_wait_dscnt 0xf
	v_dot4_i32_iu8 v169, v180, v77, v193 neg_lo:[1,1,0]
	v_dot4_i32_iu8 v170, v180, v78, v194 neg_lo:[1,1,0]
	;; [unrolled: 1-line block ×16, first 2 shown]
	ds_load_b128 v[120:123], v21 offset:20736
	ds_load_b128 v[124:127], v20 offset:4352
	s_wait_dscnt 0x10
	v_dot4_i32_iu8 v131, v62, v184, v131 neg_lo:[1,1,0]
	v_dot4_i32_iu8 v140, v62, v185, v140 neg_lo:[1,1,0]
	;; [unrolled: 1-line block ×32, first 2 shown]
	ds_load_b128 v[61:64], v20 offset:4608
	ds_load_b128 v[74:77], v21 offset:20992
	s_wait_dscnt 0x10
	v_dot4_i32_iu8 v80, v16, v49, v150 neg_lo:[1,1,0]
	v_dot4_i32_iu8 v150, v16, v50, v151 neg_lo:[1,1,0]
	;; [unrolled: 1-line block ×16, first 2 shown]
	s_wait_dscnt 0xf
	v_dot4_i32_iu8 v168, v16, v53, v169 neg_lo:[1,1,0]
	v_dot4_i32_iu8 v169, v16, v54, v170 neg_lo:[1,1,0]
	;; [unrolled: 1-line block ×16, first 2 shown]
	ds_load_b128 v[16:19], v21 offset:21248
	s_wait_dscnt 0xf
	v_dot4_i32_iu8 v131, v57, v49, v131 neg_lo:[1,1,0]
	v_dot4_i32_iu8 v140, v57, v50, v140 neg_lo:[1,1,0]
	;; [unrolled: 1-line block ×16, first 2 shown]
	ds_load_b128 v[49:52], v20 offset:4864
	v_dot4_i32_iu8 v184, v57, v53, v184 neg_lo:[1,1,0]
	v_dot4_i32_iu8 v128, v58, v53, v128 neg_lo:[1,1,0]
	;; [unrolled: 1-line block ×16, first 2 shown]
	ds_load_b128 v[53:56], v20 offset:5120
	ds_load_b128 v[57:60], v21 offset:21504
	s_wait_dscnt 0x10
	v_dot4_i32_iu8 v189, v66, v70, v80 neg_lo:[1,1,0]
	v_dot4_i32_iu8 v150, v66, v71, v150 neg_lo:[1,1,0]
	;; [unrolled: 1-line block ×16, first 2 shown]
	s_wait_dscnt 0xf
	v_dot4_i32_iu8 v168, v66, v81, v168 neg_lo:[1,1,0]
	v_dot4_i32_iu8 v169, v66, v82, v169 neg_lo:[1,1,0]
	;; [unrolled: 1-line block ×16, first 2 shown]
	ds_load_b128 v[65:68], v21 offset:21760
	s_wait_dscnt 0xf
	v_dot4_i32_iu8 v131, v85, v70, v131 neg_lo:[1,1,0]
	v_dot4_i32_iu8 v140, v85, v71, v140 neg_lo:[1,1,0]
	;; [unrolled: 1-line block ×12, first 2 shown]
	ds_load_b128 v[69:72], v20 offset:5376
	v_dot4_i32_iu8 v142, v85, v73, v142 neg_lo:[1,1,0]
	v_dot4_i32_iu8 v159, v86, v73, v159 neg_lo:[1,1,0]
	;; [unrolled: 1-line block ×20, first 2 shown]
	ds_load_b128 v[78:81], v20 offset:5632
	ds_load_b128 v[82:85], v21 offset:22016
	s_wait_dscnt 0x10
	v_dot4_i32_iu8 v189, v89, v93, v189 neg_lo:[1,1,0]
	v_dot4_i32_iu8 v150, v89, v94, v150 neg_lo:[1,1,0]
	;; [unrolled: 1-line block ×16, first 2 shown]
	s_wait_dscnt 0xf
	v_dot4_i32_iu8 v168, v89, v97, v168 neg_lo:[1,1,0]
	v_dot4_i32_iu8 v169, v89, v98, v169 neg_lo:[1,1,0]
	;; [unrolled: 1-line block ×16, first 2 shown]
	ds_load_b128 v[86:89], v21 offset:22272
	s_wait_dscnt 0xf
	v_dot4_i32_iu8 v131, v101, v93, v131 neg_lo:[1,1,0]
	v_dot4_i32_iu8 v140, v101, v94, v140 neg_lo:[1,1,0]
	;; [unrolled: 1-line block ×12, first 2 shown]
	ds_load_b128 v[90:93], v20 offset:5888
	v_dot4_i32_iu8 v142, v101, v96, v142 neg_lo:[1,1,0]
	v_dot4_i32_iu8 v159, v102, v96, v159 neg_lo:[1,1,0]
	;; [unrolled: 1-line block ×20, first 2 shown]
	s_wait_dscnt 0xe
	v_dot4_i32_iu8 v189, v105, v116, v189 neg_lo:[1,1,0]
	v_dot4_i32_iu8 v150, v105, v117, v150 neg_lo:[1,1,0]
	;; [unrolled: 1-line block ×15, first 2 shown]
	s_wait_dscnt 0xd
	v_dot4_i32_iu8 v171, v106, v120, v171 neg_lo:[1,1,0]
	v_dot4_i32_iu8 v172, v106, v121, v172 neg_lo:[1,1,0]
	;; [unrolled: 1-line block ×12, first 2 shown]
	s_wait_dscnt 0xc
	v_dot4_i32_iu8 v131, v124, v116, v131 neg_lo:[1,1,0]
	v_dot4_i32_iu8 v140, v124, v117, v140 neg_lo:[1,1,0]
	;; [unrolled: 1-line block ×37, first 2 shown]
	s_wait_dscnt 0xa
	v_dot4_i32_iu8 v187, v61, v74, v189 neg_lo:[1,1,0]
	v_dot4_i32_iu8 v150, v61, v75, v150 neg_lo:[1,1,0]
	;; [unrolled: 1-line block ×13, first 2 shown]
	s_wait_dscnt 0x9
	v_dot4_i32_iu8 v174, v64, v16, v174 neg_lo:[1,1,0]
	v_dot4_i32_iu8 v178, v64, v17, v178 neg_lo:[1,1,0]
	;; [unrolled: 1-line block ×4, first 2 shown]
	s_wait_dscnt 0x8
	v_dot4_i32_iu8 v188, v49, v74, v131 neg_lo:[1,1,0]
	v_dot4_i32_iu8 v140, v49, v75, v140 neg_lo:[1,1,0]
	;; [unrolled: 1-line block ×47, first 2 shown]
	s_wait_dscnt 0x6
	v_dot4_i32_iu8 v136, v53, v57, v187 neg_lo:[1,1,0]
	v_dot4_i32_iu8 v150, v53, v58, v150 neg_lo:[1,1,0]
	;; [unrolled: 1-line block ×13, first 2 shown]
	s_wait_dscnt 0x5
	v_dot4_i32_iu8 v174, v56, v65, v174 neg_lo:[1,1,0]
	v_dot4_i32_iu8 v178, v56, v66, v178 neg_lo:[1,1,0]
	;; [unrolled: 1-line block ×4, first 2 shown]
	s_wait_dscnt 0x4
	v_dot4_i32_iu8 v184, v69, v57, v188 neg_lo:[1,1,0]
	v_dot4_i32_iu8 v140, v69, v58, v140 neg_lo:[1,1,0]
	v_dot4_i32_iu8 v141, v69, v59, v141 neg_lo:[1,1,0]
	v_dot4_i32_iu8 v175, v70, v57, v175 neg_lo:[1,1,0]
	v_dot4_i32_iu8 v143, v70, v58, v143 neg_lo:[1,1,0]
	v_dot4_i32_iu8 v158, v70, v59, v158 neg_lo:[1,1,0]
	v_dot4_i32_iu8 v180, v71, v57, v180 neg_lo:[1,1,0]
	v_dot4_i32_iu8 v181, v71, v58, v181 neg_lo:[1,1,0]
	v_dot4_i32_iu8 v182, v71, v59, v182 neg_lo:[1,1,0]
	v_dot4_i32_iu8 v164, v72, v57, v164 neg_lo:[1,1,0]
	v_dot4_i32_iu8 v185, v72, v58, v132 neg_lo:[1,1,0]
	v_dot4_i32_iu8 v186, v72, v59, v133 neg_lo:[1,1,0]
	v_dot4_i32_iu8 v187, v72, v60, v77 neg_lo:[1,1,0]
	v_dot4_i32_iu8 v189, v70, v65, v189 neg_lo:[1,1,0]
	v_dot4_i32_iu8 v190, v70, v68, v190 neg_lo:[1,1,0]
	v_dot4_i32_iu8 v191, v71, v68, v191 neg_lo:[1,1,0]
	v_dot4_i32_iu8 v16, v72, v65, v16 neg_lo:[1,1,0]
	ds_load_b128 v[94:97], v20 offset:6144
	ds_load_b128 v[98:101], v21 offset:22528
	;; [unrolled: 1-line block ×10, first 2 shown]
	v_dot4_i32_iu8 v152, v53, v60, v152 neg_lo:[1,1,0]
	v_dot4_i32_iu8 v160, v54, v60, v160 neg_lo:[1,1,0]
	;; [unrolled: 1-line block ×15, first 2 shown]
	ds_load_b128 v[53:56], v21 offset:23808
	v_dot4_i32_iu8 v142, v69, v60, v142 neg_lo:[1,1,0]
	v_dot4_i32_iu8 v159, v70, v60, v159 neg_lo:[1,1,0]
	;; [unrolled: 1-line block ×3, first 2 shown]
	ds_load_b128 v[57:60], v20 offset:7424
	v_dot4_i32_iu8 v188, v69, v65, v134 neg_lo:[1,1,0]
	v_dot4_i32_iu8 v165, v69, v66, v165 neg_lo:[1,1,0]
	;; [unrolled: 1-line block ×12, first 2 shown]
	ds_load_b128 v[65:68], v20 offset:7680
	ds_load_b128 v[69:72], v21 offset:24064
	s_wait_dscnt 0x10
	v_dot4_i32_iu8 v136, v78, v82, v136 neg_lo:[1,1,0]
	v_dot4_i32_iu8 v150, v78, v83, v150 neg_lo:[1,1,0]
	;; [unrolled: 1-line block ×13, first 2 shown]
	s_wait_dscnt 0xf
	v_dot4_i32_iu8 v174, v81, v86, v174 neg_lo:[1,1,0]
	v_dot4_i32_iu8 v178, v81, v87, v178 neg_lo:[1,1,0]
	;; [unrolled: 1-line block ×4, first 2 shown]
	buffer_load_b128 v[132:135], v110, s[40:43], null offen
	s_wait_dscnt 0xe
	v_dot4_i32_iu8 v110, v90, v82, v184 neg_lo:[1,1,0]
	v_dot4_i32_iu8 v140, v90, v83, v140 neg_lo:[1,1,0]
	;; [unrolled: 1-line block ×12, first 2 shown]
	buffer_load_b128 v[81:84], v111, s[40:43], null offen
	v_dot4_i32_iu8 v186, v93, v85, v187 neg_lo:[1,1,0]
	v_dot4_i32_iu8 v187, v91, v86, v189 neg_lo:[1,1,0]
	;; [unrolled: 1-line block ×5, first 2 shown]
	v_add3_u32 v16, v48, v113, v115
	v_dot4_i32_iu8 v156, v78, v89, v156 neg_lo:[1,1,0]
	v_dot4_i32_iu8 v106, v79, v89, v106 neg_lo:[1,1,0]
	;; [unrolled: 1-line block ×18, first 2 shown]
	buffer_load_b128 v[89:92], v16, s[36:39], null offen
	v_add3_u32 v48, v112, v114, v16
	v_dot4_i32_iu8 v152, v78, v85, v152 neg_lo:[1,1,0]
	v_dot4_i32_iu8 v160, v79, v85, v160 neg_lo:[1,1,0]
	;; [unrolled: 1-line block ×4, first 2 shown]
	buffer_load_b128 v[16:19], v48, s[36:39], null offen
	v_dot4_i32_iu8 v169, v78, v87, v169 neg_lo:[1,1,0]
	v_dot4_i32_iu8 v170, v78, v88, v170 neg_lo:[1,1,0]
	;; [unrolled: 1-line block ×8, first 2 shown]
	ds_load_b128 v[77:80], v21 offset:24320
	ds_load_b128 v[85:88], v20 offset:7936
	s_wait_dscnt 0xe
	v_dot4_i32_iu8 v112, v94, v98, v136 neg_lo:[1,1,0]
	v_dot4_i32_iu8 v113, v94, v99, v150 neg_lo:[1,1,0]
	v_dot4_i32_iu8 v114, v94, v100, v151 neg_lo:[1,1,0]
	v_dot4_i32_iu8 v115, v94, v101, v152 neg_lo:[1,1,0]
	v_dot4_i32_iu8 v136, v95, v98, v153 neg_lo:[1,1,0]
	v_dot4_i32_iu8 v150, v95, v99, v154 neg_lo:[1,1,0]
	v_dot4_i32_iu8 v151, v95, v100, v155 neg_lo:[1,1,0]
	v_dot4_i32_iu8 v152, v95, v101, v160 neg_lo:[1,1,0]
	v_dot4_i32_iu8 v153, v96, v98, v161 neg_lo:[1,1,0]
	v_dot4_i32_iu8 v154, v96, v99, v162 neg_lo:[1,1,0]
	v_dot4_i32_iu8 v137, v96, v100, v137 neg_lo:[1,1,0]
	v_dot4_i32_iu8 v138, v96, v101, v138 neg_lo:[1,1,0]
	v_dot4_i32_iu8 v139, v97, v98, v139 neg_lo:[1,1,0]
	v_dot4_i32_iu8 v146, v97, v99, v146 neg_lo:[1,1,0]
	v_dot4_i32_iu8 v147, v97, v100, v147 neg_lo:[1,1,0]
	v_dot4_i32_iu8 v155, v97, v101, v163 neg_lo:[1,1,0]
	s_wait_dscnt 0xd
	v_dot4_i32_iu8 v160, v94, v102, v168 neg_lo:[1,1,0]
	v_dot4_i32_iu8 v161, v94, v103, v169 neg_lo:[1,1,0]
	v_dot4_i32_iu8 v162, v94, v104, v170 neg_lo:[1,1,0]
	v_dot4_i32_iu8 v94, v94, v105, v156 neg_lo:[1,1,0]
	v_dot4_i32_iu8 v156, v95, v102, v171 neg_lo:[1,1,0]
	v_dot4_i32_iu8 v163, v95, v103, v172 neg_lo:[1,1,0]
	v_dot4_i32_iu8 v168, v95, v104, v176 neg_lo:[1,1,0]
	v_dot4_i32_iu8 v95, v95, v105, v106 neg_lo:[1,1,0]
	v_dot4_i32_iu8 v106, v96, v102, v157 neg_lo:[1,1,0]
	v_dot4_i32_iu8 v157, v96, v103, v173 neg_lo:[1,1,0]
	v_dot4_i32_iu8 v169, v96, v104, v177 neg_lo:[1,1,0]
	v_dot4_i32_iu8 v96, v96, v105, v107 neg_lo:[1,1,0]
	v_dot4_i32_iu8 v107, v97, v102, v174 neg_lo:[1,1,0]
	v_dot4_i32_iu8 v170, v97, v103, v178 neg_lo:[1,1,0]
	v_dot4_i32_iu8 v171, v97, v104, v179 neg_lo:[1,1,0]
	v_dot4_i32_iu8 v97, v97, v105, v108 neg_lo:[1,1,0]
	;; [unrolled: 17-line block ×3, first 2 shown]
	v_dot4_i32_iu8 v111, v116, v102, v111 neg_lo:[1,1,0]
	v_dot4_i32_iu8 v164, v116, v103, v165 neg_lo:[1,1,0]
	v_dot4_i32_iu8 v165, v116, v104, v166 neg_lo:[1,1,0]
	v_dot4_i32_iu8 v116, v116, v105, v167 neg_lo:[1,1,0]
	v_dot4_i32_iu8 v166, v117, v102, v187 neg_lo:[1,1,0]
	v_dot4_i32_iu8 v167, v117, v103, v188 neg_lo:[1,1,0]
	v_dot4_i32_iu8 v144, v117, v104, v144 neg_lo:[1,1,0]
	v_dot4_i32_iu8 v117, v117, v105, v189 neg_lo:[1,1,0]
	v_dot4_i32_iu8 v145, v118, v102, v145 neg_lo:[1,1,0]
	v_dot4_i32_iu8 v148, v118, v103, v148 neg_lo:[1,1,0]
	v_dot4_i32_iu8 v149, v118, v104, v149 neg_lo:[1,1,0]
	v_dot4_i32_iu8 v118, v118, v105, v190 neg_lo:[1,1,0]
	v_dot4_i32_iu8 v102, v119, v102, v191 neg_lo:[1,1,0]
	v_dot4_i32_iu8 v103, v119, v103, v192 neg_lo:[1,1,0]
	v_dot4_i32_iu8 v104, v119, v104, v193 neg_lo:[1,1,0]
	v_dot4_i32_iu8 v93, v119, v105, v93 neg_lo:[1,1,0]
	s_wait_dscnt 0xa
	v_dot4_i32_iu8 v105, v120, v124, v112 neg_lo:[1,1,0]
	v_dot4_i32_iu8 v112, v120, v125, v113 neg_lo:[1,1,0]
	v_dot4_i32_iu8 v113, v120, v126, v114 neg_lo:[1,1,0]
	v_dot4_i32_iu8 v114, v120, v127, v115 neg_lo:[1,1,0]
	v_dot4_i32_iu8 v115, v121, v124, v136 neg_lo:[1,1,0]
	v_dot4_i32_iu8 v119, v121, v125, v150 neg_lo:[1,1,0]
	v_dot4_i32_iu8 v136, v121, v126, v151 neg_lo:[1,1,0]
	v_dot4_i32_iu8 v150, v121, v127, v152 neg_lo:[1,1,0]
	v_dot4_i32_iu8 v151, v122, v124, v153 neg_lo:[1,1,0]
	v_dot4_i32_iu8 v152, v122, v125, v154 neg_lo:[1,1,0]
	v_dot4_i32_iu8 v137, v122, v126, v137 neg_lo:[1,1,0]
	v_dot4_i32_iu8 v138, v122, v127, v138 neg_lo:[1,1,0]
	v_dot4_i32_iu8 v139, v123, v124, v139 neg_lo:[1,1,0]
	v_dot4_i32_iu8 v146, v123, v125, v146 neg_lo:[1,1,0]
	v_dot4_i32_iu8 v147, v123, v126, v147 neg_lo:[1,1,0]
	v_dot4_i32_iu8 v153, v123, v127, v155 neg_lo:[1,1,0]
	s_wait_dscnt 0x9
	;; [unrolled: 17-line block ×3, first 2 shown]
	v_dot4_i32_iu8 v108, v73, v124, v108 neg_lo:[1,1,0]
	v_dot4_i32_iu8 v110, v73, v125, v110 neg_lo:[1,1,0]
	;; [unrolled: 1-line block ×32, first 2 shown]
	s_wait_loadcnt 0x7
	v_cndmask_b32_e64 v5, 0, v5, s7
	v_cndmask_b32_e64 v4, 0, v4, s7
	;; [unrolled: 1-line block ×4, first 2 shown]
	s_wait_loadcnt 0x6
	v_cndmask_b32_e64 v1, 0, v1, s3
	v_cndmask_b32_e64 v0, 0, v0, s3
	v_cmp_gt_i32_e64 s6, s65, v36
	s_and_b32 s4, s2, s4
	s_and_b32 s9, s8, s9
	;; [unrolled: 1-line block ×3, first 2 shown]
	v_cndmask_b32_e64 v3, 0, v3, s3
	v_cndmask_b32_e64 v2, 0, v2, s3
	v_cmp_gt_i32_e64 s5, s65, v37
	s_wait_dscnt 0x6
	v_dot4_i32_iu8 v76, v49, v128, v105 neg_lo:[1,1,0]
	v_dot4_i32_iu8 v93, v49, v129, v112 neg_lo:[1,1,0]
	v_dot4_i32_iu8 v102, v49, v130, v113 neg_lo:[1,1,0]
	v_dot4_i32_iu8 v103, v49, v131, v114 neg_lo:[1,1,0]
	v_dot4_i32_iu8 v104, v50, v128, v115 neg_lo:[1,1,0]
	v_dot4_i32_iu8 v105, v50, v129, v119 neg_lo:[1,1,0]
	v_dot4_i32_iu8 v112, v50, v130, v136 neg_lo:[1,1,0]
	v_dot4_i32_iu8 v113, v50, v131, v150 neg_lo:[1,1,0]
	v_dot4_i32_iu8 v114, v51, v128, v151 neg_lo:[1,1,0]
	v_dot4_i32_iu8 v115, v51, v129, v152 neg_lo:[1,1,0]
	v_dot4_i32_iu8 v118, v51, v130, v137 neg_lo:[1,1,0]
	v_dot4_i32_iu8 v119, v51, v131, v138 neg_lo:[1,1,0]
	v_dot4_i32_iu8 v136, v52, v128, v139 neg_lo:[1,1,0]
	v_dot4_i32_iu8 v137, v52, v129, v146 neg_lo:[1,1,0]
	v_dot4_i32_iu8 v138, v52, v130, v147 neg_lo:[1,1,0]
	v_dot4_i32_iu8 v139, v52, v131, v153 neg_lo:[1,1,0]
	s_wait_dscnt 0x5
	v_dot4_i32_iu8 v146, v49, v53, v154 neg_lo:[1,1,0]
	v_dot4_i32_iu8 v147, v49, v54, v155 neg_lo:[1,1,0]
	v_dot4_i32_iu8 v148, v49, v55, v160 neg_lo:[1,1,0]
	v_dot4_i32_iu8 v49, v49, v56, v94 neg_lo:[1,1,0]
	v_dot4_i32_iu8 v94, v50, v53, v120 neg_lo:[1,1,0]
	v_dot4_i32_iu8 v120, v50, v54, v156 neg_lo:[1,1,0]
	v_dot4_i32_iu8 v149, v50, v55, v161 neg_lo:[1,1,0]
	v_dot4_i32_iu8 v50, v50, v56, v95 neg_lo:[1,1,0]
	v_dot4_i32_iu8 v95, v51, v53, v106 neg_lo:[1,1,0]
	v_dot4_i32_iu8 v106, v51, v54, v121 neg_lo:[1,1,0]
	v_dot4_i32_iu8 v121, v51, v55, v157 neg_lo:[1,1,0]
	v_dot4_i32_iu8 v51, v51, v56, v96 neg_lo:[1,1,0]
	v_dot4_i32_iu8 v96, v52, v53, v107 neg_lo:[1,1,0]
	v_dot4_i32_iu8 v107, v52, v54, v122 neg_lo:[1,1,0]
	v_dot4_i32_iu8 v122, v52, v55, v162 neg_lo:[1,1,0]
	v_dot4_i32_iu8 v52, v52, v56, v97 neg_lo:[1,1,0]
	;; [unrolled: 17-line block ×3, first 2 shown]
	v_dot4_i32_iu8 v111, v57, v53, v111 neg_lo:[1,1,0]
	v_dot4_i32_iu8 v124, v57, v54, v124 neg_lo:[1,1,0]
	;; [unrolled: 1-line block ×16, first 2 shown]
	ds_store_2addr_stride64_b32 v24, v4, v5 offset0:96 offset1:98
	ds_store_2addr_stride64_b32 v24, v6, v7 offset0:100 offset1:102
	;; [unrolled: 1-line block ×4, first 2 shown]
	s_wait_loadcnt 0x5
	s_wait_alu 0xfffe
	v_cndmask_b32_e64 v2, 0, v9, s4
	v_cndmask_b32_e64 v3, 0, v8, s4
	s_wait_loadcnt 0x4
	v_cndmask_b32_e64 v13, 0, v13, s8
	v_cndmask_b32_e64 v12, 0, v12, s8
	;; [unrolled: 1-line block ×6, first 2 shown]
	s_and_b32 s10, vcc_lo, s6
	s_and_b32 s11, vcc_lo, s5
	v_cmp_le_i32_e64 s5, s55, v28
	v_cmp_gt_i32_e64 s6, s27, v28
	s_and_b32 s9, s64, s9
	s_wait_dscnt 0x6
	v_dot4_i32_iu8 v128, v65, v69, v76 neg_lo:[1,1,0]
	v_dot4_i32_iu8 v129, v65, v70, v93 neg_lo:[1,1,0]
	v_dot4_i32_iu8 v130, v65, v71, v102 neg_lo:[1,1,0]
	v_dot4_i32_iu8 v131, v65, v72, v103 neg_lo:[1,1,0]
	v_dot4_i32_iu8 v144, v66, v69, v104 neg_lo:[1,1,0]
	v_dot4_i32_iu8 v145, v66, v70, v105 neg_lo:[1,1,0]
	v_dot4_i32_iu8 v154, v66, v71, v112 neg_lo:[1,1,0]
	v_dot4_i32_iu8 v155, v66, v72, v113 neg_lo:[1,1,0]
	v_dot4_i32_iu8 v156, v67, v69, v114 neg_lo:[1,1,0]
	v_dot4_i32_iu8 v157, v67, v70, v115 neg_lo:[1,1,0]
	v_dot4_i32_iu8 v158, v67, v71, v118 neg_lo:[1,1,0]
	v_dot4_i32_iu8 v159, v67, v72, v119 neg_lo:[1,1,0]
	v_dot4_i32_iu8 v136, v68, v69, v136 neg_lo:[1,1,0]
	v_dot4_i32_iu8 v137, v68, v70, v137 neg_lo:[1,1,0]
	v_dot4_i32_iu8 v138, v68, v71, v138 neg_lo:[1,1,0]
	v_dot4_i32_iu8 v139, v68, v72, v139 neg_lo:[1,1,0]
	s_wait_dscnt 0x5
	v_dot4_i32_iu8 v146, v65, v77, v146 neg_lo:[1,1,0]
	v_dot4_i32_iu8 v147, v65, v78, v147 neg_lo:[1,1,0]
	v_dot4_i32_iu8 v148, v65, v79, v148 neg_lo:[1,1,0]
	v_dot4_i32_iu8 v160, v65, v80, v49 neg_lo:[1,1,0]
	v_dot4_i32_iu8 v161, v66, v77, v94 neg_lo:[1,1,0]
	v_dot4_i32_iu8 v162, v66, v78, v120 neg_lo:[1,1,0]
	v_dot4_i32_iu8 v149, v66, v79, v149 neg_lo:[1,1,0]
	v_dot4_i32_iu8 v163, v66, v80, v50 neg_lo:[1,1,0]
	v_dot4_i32_iu8 v164, v67, v77, v95 neg_lo:[1,1,0]
	v_dot4_i32_iu8 v165, v67, v78, v106 neg_lo:[1,1,0]
	v_dot4_i32_iu8 v166, v67, v79, v121 neg_lo:[1,1,0]
	v_dot4_i32_iu8 v167, v67, v80, v51 neg_lo:[1,1,0]
	v_dot4_i32_iu8 v168, v68, v77, v96 neg_lo:[1,1,0]
	v_dot4_i32_iu8 v169, v68, v78, v107 neg_lo:[1,1,0]
	v_dot4_i32_iu8 v170, v68, v79, v122 neg_lo:[1,1,0]
	v_dot4_i32_iu8 v171, v68, v80, v52 neg_lo:[1,1,0]
	;; [unrolled: 17-line block ×3, first 2 shown]
	v_dot4_i32_iu8 v180, v85, v77, v111 neg_lo:[1,1,0]
	v_dot4_i32_iu8 v181, v85, v78, v124 neg_lo:[1,1,0]
	;; [unrolled: 1-line block ×16, first 2 shown]
	ds_store_2addr_stride64_b32 v24, v3, v2 offset0:32 offset1:34
	ds_store_2addr_stride64_b32 v24, v1, v0 offset0:36 offset1:38
	s_wait_loadcnt 0x2
	s_wait_alu 0xfffe
	v_cndmask_b32_e64 v6, 0, v84, s10
	v_cndmask_b32_e64 v7, 0, v83, s10
	;; [unrolled: 1-line block ×4, first 2 shown]
	ds_store_2addr_stride64_b32 v24, v12, v13 offset0:40 offset1:42
	ds_store_2addr_stride64_b32 v24, v14, v15 offset0:44 offset1:46
	s_wait_dscnt 0x0
	s_barrier_signal -1
	s_barrier_wait -1
	ds_load_b128 v[12:15], v21 offset:24576
	ds_load_b128 v[49:52], v21 offset:24832
	ds_load_b128 v[53:56], v20 offset:8192
	ds_load_b128 v[57:60], v20 offset:8448
	ds_load_b128 v[61:64], v21 offset:25088
	ds_load_b128 v[65:68], v21 offset:25344
	ds_load_b128 v[69:72], v20 offset:8704
	ds_load_b128 v[73:76], v20 offset:8960
	ds_load_b128 v[77:80], v21 offset:25600
	ds_load_b128 v[81:84], v21 offset:25856
	ds_load_b128 v[85:88], v20 offset:9216
	ds_load_b128 v[93:96], v20 offset:9472
	ds_load_b128 v[97:100], v21 offset:26112
	ds_load_b128 v[101:104], v21 offset:26368
	ds_load_b128 v[105:108], v20 offset:9728
	ds_load_b128 v[110:113], v20 offset:9984
	ds_load_b128 v[114:117], v21 offset:26624
	ds_load_b128 v[118:121], v21 offset:26880
	s_and_b32 s9, s66, s9
	s_and_b32 s5, s5, s6
	s_wait_alu 0xfffe
	s_and_b32 s6, s2, s9
	v_cndmask_b32_e64 v4, 0, v135, s11
	v_cndmask_b32_e64 v5, 0, v134, s11
	;; [unrolled: 1-line block ×4, first 2 shown]
	s_wait_dscnt 0xf
	v_dot4_i32_iu8 v128, v53, v12, v128 neg_lo:[1,1,0]
	v_dot4_i32_iu8 v129, v53, v13, v129 neg_lo:[1,1,0]
	;; [unrolled: 1-line block ×3, first 2 shown]
	s_wait_loadcnt 0x1
	s_wait_alu 0xfffe
	v_cndmask_b32_e64 v0, 0, v92, s6
	v_cndmask_b32_e64 v1, 0, v91, s6
	;; [unrolled: 1-line block ×4, first 2 shown]
	ds_load_b128 v[89:92], v20 offset:10240
	ds_load_b128 v[122:125], v20 offset:10496
	v_dot4_i32_iu8 v131, v53, v15, v131 neg_lo:[1,1,0]
	v_dot4_i32_iu8 v132, v54, v12, v144 neg_lo:[1,1,0]
	v_dot4_i32_iu8 v133, v54, v13, v145 neg_lo:[1,1,0]
	v_dot4_i32_iu8 v134, v54, v14, v154 neg_lo:[1,1,0]
	v_dot4_i32_iu8 v135, v54, v15, v155 neg_lo:[1,1,0]
	v_dot4_i32_iu8 v144, v55, v12, v156 neg_lo:[1,1,0]
	v_dot4_i32_iu8 v145, v55, v13, v157 neg_lo:[1,1,0]
	v_dot4_i32_iu8 v154, v55, v14, v158 neg_lo:[1,1,0]
	v_dot4_i32_iu8 v155, v55, v15, v159 neg_lo:[1,1,0]
	v_dot4_i32_iu8 v136, v56, v12, v136 neg_lo:[1,1,0]
	v_dot4_i32_iu8 v137, v56, v13, v137 neg_lo:[1,1,0]
	v_dot4_i32_iu8 v138, v56, v14, v138 neg_lo:[1,1,0]
	v_dot4_i32_iu8 v139, v56, v15, v139 neg_lo:[1,1,0]
	v_dot4_i32_iu8 v146, v53, v49, v146 neg_lo:[1,1,0]
	v_dot4_i32_iu8 v147, v53, v50, v147 neg_lo:[1,1,0]
	v_dot4_i32_iu8 v148, v53, v51, v148 neg_lo:[1,1,0]
	v_dot4_i32_iu8 v156, v53, v52, v160 neg_lo:[1,1,0]
	v_dot4_i32_iu8 v157, v54, v49, v161 neg_lo:[1,1,0]
	v_dot4_i32_iu8 v158, v54, v50, v162 neg_lo:[1,1,0]
	v_dot4_i32_iu8 v149, v54, v51, v149 neg_lo:[1,1,0]
	v_dot4_i32_iu8 v159, v54, v52, v163 neg_lo:[1,1,0]
	v_dot4_i32_iu8 v160, v55, v49, v164 neg_lo:[1,1,0]
	v_dot4_i32_iu8 v161, v55, v50, v165 neg_lo:[1,1,0]
	v_dot4_i32_iu8 v162, v55, v51, v166 neg_lo:[1,1,0]
	v_dot4_i32_iu8 v163, v55, v52, v167 neg_lo:[1,1,0]
	v_dot4_i32_iu8 v164, v56, v49, v168 neg_lo:[1,1,0]
	v_dot4_i32_iu8 v165, v56, v50, v169 neg_lo:[1,1,0]
	v_dot4_i32_iu8 v166, v56, v51, v170 neg_lo:[1,1,0]
	v_dot4_i32_iu8 v167, v56, v52, v171 neg_lo:[1,1,0]
	s_wait_dscnt 0x10
	v_dot4_i32_iu8 v168, v57, v12, v172 neg_lo:[1,1,0]
	v_dot4_i32_iu8 v169, v57, v13, v173 neg_lo:[1,1,0]
	;; [unrolled: 1-line block ×32, first 2 shown]
	ds_load_b128 v[53:56], v21 offset:27136
	ds_load_b128 v[12:15], v21 offset:27392
	;; [unrolled: 1-line block ×4, first 2 shown]
	s_wait_dscnt 0x11
	v_dot4_i32_iu8 v128, v69, v61, v128 neg_lo:[1,1,0]
	v_dot4_i32_iu8 v129, v69, v62, v129 neg_lo:[1,1,0]
	;; [unrolled: 1-line block ×32, first 2 shown]
	s_wait_dscnt 0x10
	v_dot4_i32_iu8 v168, v73, v61, v168 neg_lo:[1,1,0]
	v_dot4_i32_iu8 v169, v73, v62, v169 neg_lo:[1,1,0]
	;; [unrolled: 1-line block ×32, first 2 shown]
	ds_load_b128 v[69:72], v21 offset:27648
	ds_load_b128 v[61:64], v21 offset:27904
	;; [unrolled: 1-line block ×4, first 2 shown]
	s_wait_dscnt 0x11
	v_dot4_i32_iu8 v128, v85, v77, v128 neg_lo:[1,1,0]
	v_dot4_i32_iu8 v129, v85, v78, v129 neg_lo:[1,1,0]
	;; [unrolled: 1-line block ×32, first 2 shown]
	s_wait_dscnt 0x10
	v_dot4_i32_iu8 v168, v93, v77, v168 neg_lo:[1,1,0]
	v_dot4_i32_iu8 v169, v93, v78, v169 neg_lo:[1,1,0]
	;; [unrolled: 1-line block ×32, first 2 shown]
	ds_load_b128 v[85:88], v21 offset:28160
	ds_load_b128 v[77:80], v21 offset:28416
	;; [unrolled: 1-line block ×4, first 2 shown]
	s_wait_dscnt 0x11
	v_dot4_i32_iu8 v128, v105, v97, v128 neg_lo:[1,1,0]
	v_dot4_i32_iu8 v129, v105, v98, v129 neg_lo:[1,1,0]
	;; [unrolled: 1-line block ×32, first 2 shown]
	s_wait_dscnt 0x10
	v_dot4_i32_iu8 v168, v110, v97, v168 neg_lo:[1,1,0]
	v_dot4_i32_iu8 v169, v110, v98, v169 neg_lo:[1,1,0]
	;; [unrolled: 1-line block ×32, first 2 shown]
	ds_load_b128 v[105:108], v21 offset:28672
	ds_load_b128 v[97:100], v21 offset:28928
	;; [unrolled: 1-line block ×4, first 2 shown]
	s_wait_dscnt 0x11
	v_dot4_i32_iu8 v128, v89, v114, v128 neg_lo:[1,1,0]
	v_dot4_i32_iu8 v129, v89, v115, v129 neg_lo:[1,1,0]
	;; [unrolled: 1-line block ×32, first 2 shown]
	s_wait_dscnt 0x10
	v_dot4_i32_iu8 v168, v122, v114, v168 neg_lo:[1,1,0]
	v_dot4_i32_iu8 v169, v122, v115, v169 neg_lo:[1,1,0]
	;; [unrolled: 1-line block ×32, first 2 shown]
	ds_load_b128 v[89:92], v21 offset:29184
	ds_load_b128 v[114:117], v21 offset:29440
	;; [unrolled: 1-line block ×4, first 2 shown]
	s_wait_dscnt 0x11
	v_dot4_i32_iu8 v128, v49, v53, v128 neg_lo:[1,1,0]
	v_dot4_i32_iu8 v129, v49, v54, v129 neg_lo:[1,1,0]
	v_dot4_i32_iu8 v130, v49, v55, v130 neg_lo:[1,1,0]
	v_dot4_i32_iu8 v131, v49, v56, v131 neg_lo:[1,1,0]
	v_dot4_i32_iu8 v132, v50, v53, v132 neg_lo:[1,1,0]
	v_dot4_i32_iu8 v133, v50, v54, v133 neg_lo:[1,1,0]
	v_dot4_i32_iu8 v134, v50, v55, v134 neg_lo:[1,1,0]
	v_dot4_i32_iu8 v135, v50, v56, v135 neg_lo:[1,1,0]
	v_dot4_i32_iu8 v144, v51, v53, v144 neg_lo:[1,1,0]
	v_dot4_i32_iu8 v145, v51, v54, v145 neg_lo:[1,1,0]
	v_dot4_i32_iu8 v154, v51, v55, v154 neg_lo:[1,1,0]
	v_dot4_i32_iu8 v155, v51, v56, v155 neg_lo:[1,1,0]
	v_dot4_i32_iu8 v136, v52, v53, v136 neg_lo:[1,1,0]
	v_dot4_i32_iu8 v137, v52, v54, v137 neg_lo:[1,1,0]
	v_dot4_i32_iu8 v138, v52, v55, v138 neg_lo:[1,1,0]
	v_dot4_i32_iu8 v139, v52, v56, v139 neg_lo:[1,1,0]
	v_dot4_i32_iu8 v146, v49, v12, v146 neg_lo:[1,1,0]
	v_dot4_i32_iu8 v147, v49, v13, v147 neg_lo:[1,1,0]
	v_dot4_i32_iu8 v148, v49, v14, v148 neg_lo:[1,1,0]
	v_dot4_i32_iu8 v156, v49, v15, v156 neg_lo:[1,1,0]
	v_dot4_i32_iu8 v157, v50, v12, v157 neg_lo:[1,1,0]
	v_dot4_i32_iu8 v158, v50, v13, v158 neg_lo:[1,1,0]
	v_dot4_i32_iu8 v149, v50, v14, v149 neg_lo:[1,1,0]
	v_dot4_i32_iu8 v159, v50, v15, v159 neg_lo:[1,1,0]
	v_dot4_i32_iu8 v160, v51, v12, v160 neg_lo:[1,1,0]
	v_dot4_i32_iu8 v161, v51, v13, v161 neg_lo:[1,1,0]
	v_dot4_i32_iu8 v162, v51, v14, v162 neg_lo:[1,1,0]
	v_dot4_i32_iu8 v163, v51, v15, v163 neg_lo:[1,1,0]
	v_dot4_i32_iu8 v164, v52, v12, v164 neg_lo:[1,1,0]
	v_dot4_i32_iu8 v165, v52, v13, v165 neg_lo:[1,1,0]
	v_dot4_i32_iu8 v166, v52, v14, v166 neg_lo:[1,1,0]
	v_dot4_i32_iu8 v167, v52, v15, v167 neg_lo:[1,1,0]
	s_wait_dscnt 0x10
	v_dot4_i32_iu8 v168, v57, v53, v168 neg_lo:[1,1,0]
	v_dot4_i32_iu8 v169, v57, v54, v169 neg_lo:[1,1,0]
	v_dot4_i32_iu8 v170, v57, v55, v170 neg_lo:[1,1,0]
	v_dot4_i32_iu8 v171, v57, v56, v171 neg_lo:[1,1,0]
	v_dot4_i32_iu8 v140, v58, v53, v140 neg_lo:[1,1,0]
	v_dot4_i32_iu8 v141, v58, v54, v141 neg_lo:[1,1,0]
	v_dot4_i32_iu8 v142, v58, v55, v142 neg_lo:[1,1,0]
	v_dot4_i32_iu8 v143, v58, v56, v143 neg_lo:[1,1,0]
	v_dot4_i32_iu8 v150, v59, v53, v150 neg_lo:[1,1,0]
	v_dot4_i32_iu8 v151, v59, v54, v151 neg_lo:[1,1,0]
	v_dot4_i32_iu8 v152, v59, v55, v152 neg_lo:[1,1,0]
	v_dot4_i32_iu8 v153, v59, v56, v153 neg_lo:[1,1,0]
	v_dot4_i32_iu8 v172, v60, v53, v172 neg_lo:[1,1,0]
	v_dot4_i32_iu8 v173, v60, v54, v173 neg_lo:[1,1,0]
	v_dot4_i32_iu8 v174, v60, v55, v174 neg_lo:[1,1,0]
	v_dot4_i32_iu8 v175, v60, v56, v175 neg_lo:[1,1,0]
	v_dot4_i32_iu8 v176, v57, v12, v176 neg_lo:[1,1,0]
	v_dot4_i32_iu8 v177, v57, v13, v177 neg_lo:[1,1,0]
	v_dot4_i32_iu8 v178, v57, v14, v178 neg_lo:[1,1,0]
	v_dot4_i32_iu8 v179, v57, v15, v179 neg_lo:[1,1,0]
	v_dot4_i32_iu8 v180, v58, v12, v180 neg_lo:[1,1,0]
	v_dot4_i32_iu8 v181, v58, v13, v181 neg_lo:[1,1,0]
	v_dot4_i32_iu8 v126, v58, v14, v126 neg_lo:[1,1,0]
	v_dot4_i32_iu8 v182, v58, v15, v182 neg_lo:[1,1,0]
	v_dot4_i32_iu8 v183, v59, v12, v183 neg_lo:[1,1,0]
	v_dot4_i32_iu8 v184, v59, v13, v184 neg_lo:[1,1,0]
	v_dot4_i32_iu8 v127, v59, v14, v127 neg_lo:[1,1,0]
	v_dot4_i32_iu8 v185, v59, v15, v185 neg_lo:[1,1,0]
	v_dot4_i32_iu8 v186, v60, v12, v186 neg_lo:[1,1,0]
	v_dot4_i32_iu8 v187, v60, v13, v187 neg_lo:[1,1,0]
	v_dot4_i32_iu8 v188, v60, v14, v188 neg_lo:[1,1,0]
	v_dot4_i32_iu8 v189, v60, v15, v189 neg_lo:[1,1,0]
	;; [unrolled: 33-line block ×4, first 2 shown]
	ds_load_b128 v[49:52], v21 offset:29696
	ds_load_b128 v[53:56], v21 offset:29952
	ds_load_b128 v[12:15], v20 offset:13312
	ds_load_b128 v[57:60], v20 offset:13568
	s_wait_dscnt 0xd
	v_dot4_i32_iu8 v128, v81, v85, v128 neg_lo:[1,1,0]
	v_dot4_i32_iu8 v129, v81, v86, v129 neg_lo:[1,1,0]
	v_dot4_i32_iu8 v130, v81, v87, v130 neg_lo:[1,1,0]
	v_dot4_i32_iu8 v131, v81, v88, v131 neg_lo:[1,1,0]
	v_dot4_i32_iu8 v132, v82, v85, v132 neg_lo:[1,1,0]
	v_dot4_i32_iu8 v133, v82, v86, v133 neg_lo:[1,1,0]
	v_dot4_i32_iu8 v134, v82, v87, v134 neg_lo:[1,1,0]
	v_dot4_i32_iu8 v135, v82, v88, v135 neg_lo:[1,1,0]
	v_dot4_i32_iu8 v144, v83, v85, v144 neg_lo:[1,1,0]
	v_dot4_i32_iu8 v145, v83, v86, v145 neg_lo:[1,1,0]
	v_dot4_i32_iu8 v154, v83, v87, v154 neg_lo:[1,1,0]
	v_dot4_i32_iu8 v155, v83, v88, v155 neg_lo:[1,1,0]
	v_dot4_i32_iu8 v136, v84, v85, v136 neg_lo:[1,1,0]
	v_dot4_i32_iu8 v137, v84, v86, v137 neg_lo:[1,1,0]
	v_dot4_i32_iu8 v138, v84, v87, v138 neg_lo:[1,1,0]
	v_dot4_i32_iu8 v139, v84, v88, v139 neg_lo:[1,1,0]
	v_dot4_i32_iu8 v146, v81, v77, v146 neg_lo:[1,1,0]
	v_dot4_i32_iu8 v147, v81, v78, v147 neg_lo:[1,1,0]
	v_dot4_i32_iu8 v148, v81, v79, v148 neg_lo:[1,1,0]
	v_dot4_i32_iu8 v156, v81, v80, v156 neg_lo:[1,1,0]
	v_dot4_i32_iu8 v157, v82, v77, v157 neg_lo:[1,1,0]
	v_dot4_i32_iu8 v158, v82, v78, v158 neg_lo:[1,1,0]
	v_dot4_i32_iu8 v149, v82, v79, v149 neg_lo:[1,1,0]
	v_dot4_i32_iu8 v159, v82, v80, v159 neg_lo:[1,1,0]
	v_dot4_i32_iu8 v160, v83, v77, v160 neg_lo:[1,1,0]
	v_dot4_i32_iu8 v161, v83, v78, v161 neg_lo:[1,1,0]
	v_dot4_i32_iu8 v162, v83, v79, v162 neg_lo:[1,1,0]
	v_dot4_i32_iu8 v163, v83, v80, v163 neg_lo:[1,1,0]
	v_dot4_i32_iu8 v164, v84, v77, v164 neg_lo:[1,1,0]
	v_dot4_i32_iu8 v165, v84, v78, v165 neg_lo:[1,1,0]
	v_dot4_i32_iu8 v166, v84, v79, v166 neg_lo:[1,1,0]
	v_dot4_i32_iu8 v167, v84, v80, v167 neg_lo:[1,1,0]
	s_wait_dscnt 0xc
	v_dot4_i32_iu8 v168, v93, v85, v168 neg_lo:[1,1,0]
	v_dot4_i32_iu8 v169, v93, v86, v169 neg_lo:[1,1,0]
	v_dot4_i32_iu8 v170, v93, v87, v170 neg_lo:[1,1,0]
	v_dot4_i32_iu8 v171, v93, v88, v171 neg_lo:[1,1,0]
	v_dot4_i32_iu8 v140, v94, v85, v140 neg_lo:[1,1,0]
	v_dot4_i32_iu8 v141, v94, v86, v141 neg_lo:[1,1,0]
	v_dot4_i32_iu8 v142, v94, v87, v142 neg_lo:[1,1,0]
	v_dot4_i32_iu8 v143, v94, v88, v143 neg_lo:[1,1,0]
	v_dot4_i32_iu8 v150, v95, v85, v150 neg_lo:[1,1,0]
	v_dot4_i32_iu8 v151, v95, v86, v151 neg_lo:[1,1,0]
	v_dot4_i32_iu8 v152, v95, v87, v152 neg_lo:[1,1,0]
	v_dot4_i32_iu8 v153, v95, v88, v153 neg_lo:[1,1,0]
	v_dot4_i32_iu8 v172, v96, v85, v172 neg_lo:[1,1,0]
	v_dot4_i32_iu8 v173, v96, v86, v173 neg_lo:[1,1,0]
	v_dot4_i32_iu8 v174, v96, v87, v174 neg_lo:[1,1,0]
	v_dot4_i32_iu8 v175, v96, v88, v175 neg_lo:[1,1,0]
	v_dot4_i32_iu8 v176, v93, v77, v176 neg_lo:[1,1,0]
	v_dot4_i32_iu8 v177, v93, v78, v177 neg_lo:[1,1,0]
	v_dot4_i32_iu8 v178, v93, v79, v178 neg_lo:[1,1,0]
	v_dot4_i32_iu8 v179, v93, v80, v179 neg_lo:[1,1,0]
	v_dot4_i32_iu8 v180, v94, v77, v180 neg_lo:[1,1,0]
	v_dot4_i32_iu8 v181, v94, v78, v181 neg_lo:[1,1,0]
	v_dot4_i32_iu8 v126, v94, v79, v126 neg_lo:[1,1,0]
	v_dot4_i32_iu8 v182, v94, v80, v182 neg_lo:[1,1,0]
	v_dot4_i32_iu8 v183, v95, v77, v183 neg_lo:[1,1,0]
	v_dot4_i32_iu8 v184, v95, v78, v184 neg_lo:[1,1,0]
	v_dot4_i32_iu8 v127, v95, v79, v127 neg_lo:[1,1,0]
	v_dot4_i32_iu8 v185, v95, v80, v185 neg_lo:[1,1,0]
	v_dot4_i32_iu8 v186, v96, v77, v186 neg_lo:[1,1,0]
	v_dot4_i32_iu8 v187, v96, v78, v187 neg_lo:[1,1,0]
	v_dot4_i32_iu8 v188, v96, v79, v188 neg_lo:[1,1,0]
	v_dot4_i32_iu8 v189, v96, v80, v189 neg_lo:[1,1,0]
	;; [unrolled: 33-line block ×4, first 2 shown]
	ds_load_b128 v[65:68], v21 offset:30208
	ds_load_b128 v[69:72], v21 offset:30464
	;; [unrolled: 1-line block ×12, first 2 shown]
	s_wait_dscnt 0x11
	v_dot4_i32_iu8 v192, v118, v89, v128 neg_lo:[1,1,0]
	v_dot4_i32_iu8 v193, v118, v90, v129 neg_lo:[1,1,0]
	;; [unrolled: 1-line block ×32, first 2 shown]
	ds_load_b128 v[118:121], v21 offset:32256
	ds_load_b128 v[126:129], v21 offset:32512
	s_wait_dscnt 0x12
	v_dot4_i32_iu8 v168, v122, v89, v168 neg_lo:[1,1,0]
	v_dot4_i32_iu8 v169, v122, v90, v169 neg_lo:[1,1,0]
	;; [unrolled: 1-line block ×32, first 2 shown]
	ds_load_b128 v[114:117], v20 offset:15872
	ds_load_b128 v[122:125], v20 offset:16128
	ds_store_2addr_stride64_b32 v24, v9, v8 offset0:64 offset1:66
	ds_store_2addr_stride64_b32 v24, v5, v4 offset0:68 offset1:70
	s_and_b32 s5, s12, s5
	ds_load_b128 v[89:92], v20 offset:14336
	ds_store_2addr_stride64_b32 v24, v11, v10 offset0:72 offset1:74
	ds_store_2addr_stride64_b32 v24, v7, v6 offset0:76 offset1:78
	ds_load_b128 v[4:7], v20 offset:14592
	ds_load_b128 v[8:11], v20 offset:14848
	s_wait_alu 0xfffe
	s_and_b32 s5, s13, s5
	s_wait_dscnt 0x18
	v_dot4_i32_iu8 v136, v15, v49, v136 neg_lo:[1,1,0]
	s_wait_alu 0xfffe
	s_and_b32 s5, s2, s5
	v_dot4_i32_iu8 v137, v15, v50, v137 neg_lo:[1,1,0]
	s_wait_loadcnt 0x0
	s_wait_alu 0xfffe
	v_cndmask_b32_e64 v194, 0, v19, s5
	v_cndmask_b32_e64 v195, 0, v18, s5
	;; [unrolled: 1-line block ×4, first 2 shown]
	v_dot4_i32_iu8 v16, v12, v49, v192 neg_lo:[1,1,0]
	v_dot4_i32_iu8 v17, v12, v50, v193 neg_lo:[1,1,0]
	;; [unrolled: 1-line block ×30, first 2 shown]
	ds_load_b128 v[12:15], v20 offset:15104
	s_wait_dscnt 0x18
	v_dot4_i32_iu8 v166, v57, v49, v168 neg_lo:[1,1,0]
	v_dot4_i32_iu8 v167, v57, v50, v169 neg_lo:[1,1,0]
	v_dot4_i32_iu8 v168, v57, v51, v170 neg_lo:[1,1,0]
	v_dot4_i32_iu8 v169, v57, v52, v171 neg_lo:[1,1,0]
	v_dot4_i32_iu8 v140, v58, v49, v140 neg_lo:[1,1,0]
	v_dot4_i32_iu8 v141, v58, v50, v141 neg_lo:[1,1,0]
	v_dot4_i32_iu8 v142, v58, v51, v142 neg_lo:[1,1,0]
	v_dot4_i32_iu8 v143, v58, v52, v143 neg_lo:[1,1,0]
	v_dot4_i32_iu8 v150, v59, v49, v150 neg_lo:[1,1,0]
	v_dot4_i32_iu8 v151, v59, v50, v151 neg_lo:[1,1,0]
	v_dot4_i32_iu8 v152, v59, v51, v152 neg_lo:[1,1,0]
	v_dot4_i32_iu8 v153, v59, v52, v153 neg_lo:[1,1,0]
	v_dot4_i32_iu8 v49, v60, v49, v172 neg_lo:[1,1,0]
	v_dot4_i32_iu8 v50, v60, v50, v173 neg_lo:[1,1,0]
	v_dot4_i32_iu8 v51, v60, v51, v174 neg_lo:[1,1,0]
	v_dot4_i32_iu8 v52, v60, v52, v175 neg_lo:[1,1,0]
	v_dot4_i32_iu8 v170, v57, v53, v176 neg_lo:[1,1,0]
	v_dot4_i32_iu8 v171, v57, v54, v177 neg_lo:[1,1,0]
	v_dot4_i32_iu8 v172, v57, v55, v178 neg_lo:[1,1,0]
	v_dot4_i32_iu8 v57, v57, v56, v179 neg_lo:[1,1,0]
	v_dot4_i32_iu8 v173, v58, v53, v180 neg_lo:[1,1,0]
	v_dot4_i32_iu8 v174, v58, v54, v181 neg_lo:[1,1,0]
	v_dot4_i32_iu8 v175, v58, v55, v190 neg_lo:[1,1,0]
	v_dot4_i32_iu8 v58, v58, v56, v182 neg_lo:[1,1,0]
	v_dot4_i32_iu8 v176, v59, v53, v183 neg_lo:[1,1,0]
	v_dot4_i32_iu8 v177, v59, v54, v184 neg_lo:[1,1,0]
	v_dot4_i32_iu8 v178, v59, v55, v191 neg_lo:[1,1,0]
	v_dot4_i32_iu8 v59, v59, v56, v185 neg_lo:[1,1,0]
	v_dot4_i32_iu8 v53, v60, v53, v186 neg_lo:[1,1,0]
	v_dot4_i32_iu8 v54, v60, v54, v187 neg_lo:[1,1,0]
	v_dot4_i32_iu8 v55, v60, v55, v188 neg_lo:[1,1,0]
	v_dot4_i32_iu8 v56, v60, v56, v189 neg_lo:[1,1,0]
	s_wait_dscnt 0x15
	v_dot4_i32_iu8 v16, v61, v65, v16 neg_lo:[1,1,0]
	v_dot4_i32_iu8 v17, v61, v66, v17 neg_lo:[1,1,0]
	v_dot4_i32_iu8 v18, v61, v67, v18 neg_lo:[1,1,0]
	v_dot4_i32_iu8 v19, v61, v68, v19 neg_lo:[1,1,0]
	v_dot4_i32_iu8 v60, v62, v65, v130 neg_lo:[1,1,0]
	v_dot4_i32_iu8 v130, v62, v66, v131 neg_lo:[1,1,0]
	v_dot4_i32_iu8 v131, v62, v67, v132 neg_lo:[1,1,0]
	v_dot4_i32_iu8 v132, v62, v68, v133 neg_lo:[1,1,0]
	v_dot4_i32_iu8 v133, v63, v65, v134 neg_lo:[1,1,0]
	v_dot4_i32_iu8 v134, v63, v66, v135 neg_lo:[1,1,0]
	v_dot4_i32_iu8 v135, v63, v67, v144 neg_lo:[1,1,0]
	v_dot4_i32_iu8 v144, v63, v68, v145 neg_lo:[1,1,0]
	v_dot4_i32_iu8 v136, v64, v65, v136 neg_lo:[1,1,0]
	v_dot4_i32_iu8 v137, v64, v66, v137 neg_lo:[1,1,0]
	v_dot4_i32_iu8 v138, v64, v67, v138 neg_lo:[1,1,0]
	v_dot4_i32_iu8 v139, v64, v68, v139 neg_lo:[1,1,0]
	v_dot4_i32_iu8 v145, v61, v69, v146 neg_lo:[1,1,0]
	v_dot4_i32_iu8 v146, v61, v70, v147 neg_lo:[1,1,0]
	v_dot4_i32_iu8 v147, v61, v71, v148 neg_lo:[1,1,0]
	v_dot4_i32_iu8 v61, v61, v72, v154 neg_lo:[1,1,0]
	v_dot4_i32_iu8 v148, v62, v69, v155 neg_lo:[1,1,0]
	v_dot4_i32_iu8 v154, v62, v70, v156 neg_lo:[1,1,0]
	v_dot4_i32_iu8 v149, v62, v71, v149 neg_lo:[1,1,0]
	v_dot4_i32_iu8 v62, v62, v72, v157 neg_lo:[1,1,0]
	v_dot4_i32_iu8 v155, v63, v69, v158 neg_lo:[1,1,0]
	v_dot4_i32_iu8 v156, v63, v70, v159 neg_lo:[1,1,0]
	v_dot4_i32_iu8 v157, v63, v71, v160 neg_lo:[1,1,0]
	v_dot4_i32_iu8 v63, v63, v72, v161 neg_lo:[1,1,0]
	v_dot4_i32_iu8 v158, v64, v69, v162 neg_lo:[1,1,0]
	v_dot4_i32_iu8 v159, v64, v70, v163 neg_lo:[1,1,0]
	v_dot4_i32_iu8 v160, v64, v71, v164 neg_lo:[1,1,0]
	v_dot4_i32_iu8 v64, v64, v72, v165 neg_lo:[1,1,0]
	;; [unrolled: 33-line block ×7, first 2 shown]
	v_dot4_i32_iu8 v15, v97, v101, v16 neg_lo:[1,1,0]
	v_dot4_i32_iu8 v16, v97, v102, v17 neg_lo:[1,1,0]
	;; [unrolled: 1-line block ×64, first 2 shown]
	v_add_nc_u32_e32 v36, s58, v36
	v_add_nc_u32_e32 v37, s58, v37
	;; [unrolled: 1-line block ×8, first 2 shown]
	v_dot4_i32_iu8 v108, v114, v118, v15 neg_lo:[1,1,0]
	v_dot4_i32_iu8 v107, v114, v119, v16 neg_lo:[1,1,0]
	;; [unrolled: 1-line block ×64, first 2 shown]
	s_add_co_i32 s77, s77, 32
	s_add_co_i32 s25, s25, s60
	s_wait_alu 0xfffe
	s_cmp_lt_i32 s77, s56
	ds_store_2addr_stride64_b32 v24, v3, v2 offset1:2
	ds_store_2addr_stride64_b32 v24, v1, v0 offset0:4 offset1:6
	ds_store_2addr_stride64_b32 v24, v197, v196 offset0:8 offset1:10
	;; [unrolled: 1-line block ×3, first 2 shown]
	s_cbranch_scc1 .LBB9_1
; %bb.2:
	v_add_nc_u32_e32 v0, 4, v32
	v_add_nc_u32_e32 v1, s75, v35
	s_load_b64 s[4:5], s[0:1], 0x10
	s_mul_u64 s[0:1], s[18:19], s[68:69]
	s_wait_dscnt 0x0
	v_mul_lo_u32 v0, s71, v0
	v_add_nc_u32_e32 v4, s24, v1
	s_barrier_signal -1
	s_barrier_wait -1
	ds_load_b128 v[12:15], v21 offset:16384
	ds_load_b128 v[32:35], v21 offset:16640
	ds_load_b128 v[36:39], v20
	ds_load_b128 v[40:43], v20 offset:256
	ds_load_b128 v[44:47], v21 offset:16896
	;; [unrolled: 1-line block ×9, first 2 shown]
	v_add3_u32 v8, s70, s25, v0
	ds_load_b128 v[138:141], v21 offset:17920
	ds_load_b128 v[142:145], v21 offset:18176
	;; [unrolled: 1-line block ×9, first 2 shown]
	v_add3_u32 v11, v0, v109, s25
	v_mul_hi_u32 v2, v8, s20
	v_add_nc_u32_e32 v174, s21, v8
	v_cmp_gt_i32_e64 s3, s61, v8
	s_mul_u64 s[6:7], s[16:17], s[68:69]
	v_mul_hi_u32 v3, v174, s20
	s_add_nc_u64 s[20:21], s[80:81], s[0:1]
	v_add_nc_u32_e32 v2, v8, v2
	v_cmp_gt_i32_e64 s1, s65, v1
	v_cmp_gt_i32_e64 s0, s65, v4
	s_wait_dscnt 0x12
	v_dot4_i32_iu8 v180, v37, v14, v102 neg_lo:[1,1,0]
	v_dot4_i32_iu8 v181, v38, v12, v100 neg_lo:[1,1,0]
	v_lshrrev_b32_e32 v9, s46, v2
	s_and_b32 s1, vcc_lo, s1
	s_and_b32 vcc_lo, vcc_lo, s0
	v_add_nc_u32_e32 v3, v174, v3
	v_dot4_i32_iu8 v105, v36, v15, v105 neg_lo:[1,1,0]
	v_mul_hi_u32 v2, v9, s67
	v_mul_lo_u32 v176, v9, s50
	v_dot4_i32_iu8 v93, v38, v15, v93 neg_lo:[1,1,0]
	v_lshrrev_b32_e32 v175, s46, v3
	v_add_nc_u32_e32 v3, v1, v31
	v_dot4_i32_iu8 v85, v39, v15, v85 neg_lo:[1,1,0]
	s_wait_dscnt 0x11
	v_dot4_i32_iu8 v66, v40, v15, v66 neg_lo:[1,1,0]
	v_dot4_i32_iu8 v62, v41, v15, v62 neg_lo:[1,1,0]
	v_add_nc_u32_e32 v2, v9, v2
	v_add_nc_u32_e32 v1, s24, v3
	v_mul_hi_u32 v10, v175, s67
	v_sub_nc_u32_e32 v8, v8, v176
	v_dot4_i32_iu8 v54, v42, v15, v54 neg_lo:[1,1,0]
	v_lshrrev_b32_e32 v31, s45, v2
	s_clause 0x1
	buffer_load_b128 v[4:7], v3, s[40:43], null offen
	buffer_load_b128 v[0:3], v1, s[40:43], null offen
	v_dot4_i32_iu8 v107, v36, v13, v107 neg_lo:[1,1,0]
	v_sub_nc_u32_e32 v176, v8, v11
	v_dot4_i32_iu8 v106, v36, v14, v106 neg_lo:[1,1,0]
	v_mul_hi_u32 v109, v31, s52
	v_add_nc_u32_e32 v10, v175, v10
	v_dot4_i32_iu8 v95, v38, v14, v95 neg_lo:[1,1,0]
	v_dot4_i32_iu8 v88, v39, v13, v88 neg_lo:[1,1,0]
	;; [unrolled: 1-line block ×4, first 2 shown]
	v_lshrrev_b32_e32 v177, s45, v10
	v_mul_lo_u32 v10, v31, s49
	v_add_nc_u32_e32 v109, v31, v109
	v_dot4_i32_iu8 v67, v40, v14, v67 neg_lo:[1,1,0]
	v_dot4_i32_iu8 v64, v41, v13, v64 neg_lo:[1,1,0]
	v_mul_hi_u32 v178, v177, s52
	v_dot4_i32_iu8 v63, v41, v14, v63 neg_lo:[1,1,0]
	v_lshrrev_b32_e32 v109, s44, v109
	v_dot4_i32_iu8 v57, v42, v13, v57 neg_lo:[1,1,0]
	v_sub_nc_u32_e32 v9, v9, v10
	v_dot4_i32_iu8 v55, v42, v14, v55 neg_lo:[1,1,0]
	v_dot4_i32_iu8 v14, v43, v14, v82 neg_lo:[1,1,0]
	v_mul_lo_u32 v179, v109, s48
	v_add_nc_u32_e32 v178, v177, v178
	v_mad_co_u64_u32 v[10:11], null, v177, s49, v[9:10]
	v_sub_nc_u32_e32 v11, v9, v25
	v_mad_co_u64_u32 v[8:9], null, v175, s50, v[8:9]
	s_delay_alu instid0(VALU_DEP_4)
	v_lshrrev_b32_e32 v25, s44, v178
	v_sub_nc_u32_e32 v9, v31, v179
	v_sub_nc_u32_e32 v26, v109, v26
	v_mul_lo_u32 v31, v11, s78
	v_sub_nc_u32_e32 v175, v175, v10
	v_dot4_i32_iu8 v179, v37, v13, v103 neg_lo:[1,1,0]
	v_mad_co_u64_u32 v[10:11], null, v25, s48, v[9:10]
	v_sub_nc_u32_e32 v11, v25, v109
	v_sub_nc_u32_e32 v9, v9, v27
	v_mul_lo_u32 v25, v26, s76
	v_mul_lo_u32 v26, v175, s78
	v_dot4_i32_iu8 v108, v36, v12, v108 neg_lo:[1,1,0]
	v_mul_lo_u32 v27, v11, s76
	v_mul_lo_u32 v109, v9, s74
	v_sub_nc_u32_e32 v9, v177, v10
	v_mul_lo_u32 v10, v176, s63
	v_mul_lo_u32 v11, v31, s31
	;; [unrolled: 1-line block ×3, first 2 shown]
	v_dot4_i32_iu8 v104, v37, v12, v104 neg_lo:[1,1,0]
	v_mul_lo_u32 v176, v9, s74
	v_mul_lo_u32 v9, v26, s31
	;; [unrolled: 1-line block ×4, first 2 shown]
	v_dot4_i32_iu8 v91, v39, v12, v91 neg_lo:[1,1,0]
	v_dot4_i32_iu8 v69, v40, v12, v69 neg_lo:[1,1,0]
	v_add3_u32 v10, v11, v10, v175
	v_dot4_i32_iu8 v175, v37, v15, v101 neg_lo:[1,1,0]
	v_mul_lo_u32 v11, v176, s30
	v_dot4_i32_iu8 v15, v43, v15, v83 neg_lo:[1,1,0]
	v_dot4_i32_iu8 v65, v41, v12, v65 neg_lo:[1,1,0]
	;; [unrolled: 1-line block ×5, first 2 shown]
	s_wait_dscnt 0xd
	v_dot4_i32_iu8 v15, v121, v47, v15 neg_lo:[1,1,0]
	v_dot4_i32_iu8 v14, v121, v46, v14 neg_lo:[1,1,0]
	;; [unrolled: 1-line block ×30, first 2 shown]
	s_wait_dscnt 0x9
	v_dot4_i32_iu8 v15, v137, v125, v15 neg_lo:[1,1,0]
	v_dot4_i32_iu8 v14, v137, v124, v14 neg_lo:[1,1,0]
	;; [unrolled: 1-line block ×12, first 2 shown]
	s_wait_dscnt 0x5
	v_dot4_i32_iu8 v14, v153, v140, v14 neg_lo:[1,1,0]
	v_dot4_i32_iu8 v12, v153, v138, v12 neg_lo:[1,1,0]
	s_wait_kmcnt 0x0
	s_add_nc_u64 s[24:25], s[4:5], s[6:7]
	v_dot4_i32_iu8 v19, v120, v110, v19 neg_lo:[1,1,0]
	v_dot4_i32_iu8 v18, v120, v111, v18 neg_lo:[1,1,0]
	;; [unrolled: 1-line block ×91, first 2 shown]
	s_wait_dscnt 0x2
	v_dot4_i32_iu8 v42, v162, v154, v42 neg_lo:[1,1,0]
	v_dot4_i32_iu8 v49, v162, v156, v49 neg_lo:[1,1,0]
	;; [unrolled: 1-line block ×10, first 2 shown]
	s_wait_dscnt 0x1
	v_dot4_i32_iu8 v69, v166, v154, v69 neg_lo:[1,1,0]
	v_dot4_i32_iu8 v68, v166, v155, v68 neg_lo:[1,1,0]
	;; [unrolled: 1-line block ×16, first 2 shown]
	s_wait_alu 0xfffe
	s_and_b32 s25, s25, 0xffff
	s_lshl_b32 s0, s73, 6
	s_and_b32 s21, s21, 0xffff
	s_wait_loadcnt 0x1
	v_cndmask_b32_e64 v5, 0, v5, s1
	s_wait_loadcnt 0x0
	v_cndmask_b32_e32 v1, 0, v1, vcc_lo
	v_sub_nc_u32_e32 v8, v174, v8
	v_cmp_gt_i32_e64 s4, s61, v174
	v_cndmask_b32_e64 v4, 0, v4, s1
	v_cndmask_b32_e64 v7, 0, v7, s1
	v_cndmask_b32_e64 v6, 0, v6, s1
	v_mul_lo_u32 v8, v8, s63
	v_dual_cndmask_b32 v0, 0, v0 :: v_dual_cndmask_b32 v3, 0, v3
	v_cndmask_b32_e32 v2, 0, v2, vcc_lo
	s_add_co_i32 s1, s0, s72
	s_delay_alu instid0(VALU_DEP_3)
	v_add3_u32 v8, v9, v8, v177
	v_add3_u32 v9, v10, v178, v48
	v_dot4_i32_iu8 v48, v38, v13, v97 neg_lo:[1,1,0]
	v_dot4_i32_iu8 v13, v43, v13, v81 neg_lo:[1,1,0]
	v_dot4_i32_iu8 v38, v38, v35, v78 neg_lo:[1,1,0]
	v_dot4_i32_iu8 v81, v117, v44, v91 neg_lo:[1,1,0]
	v_add3_u32 v97, v8, v11, v9
	s_clause 0x1
	buffer_load_b128 v[8:11], v9, s[36:39], null offen
	buffer_load_b128 v[100:103], v97, s[36:39], null offen
	v_dot4_i32_iu8 v13, v121, v45, v13 neg_lo:[1,1,0]
	v_dot4_i32_iu8 v97, v36, v32, v99 neg_lo:[1,1,0]
	;; [unrolled: 1-line block ×16, first 2 shown]
	v_add_nc_u32_e32 v15, v31, v29
	v_dot4_i32_iu8 v13, v153, v139, v13 neg_lo:[1,1,0]
	v_dot4_i32_iu8 v32, v137, v126, v32 neg_lo:[1,1,0]
	;; [unrolled: 1-line block ×3, first 2 shown]
	v_add_nc_u32_e32 v14, v109, v28
	v_cmp_gt_i32_e64 s5, s54, v15
	v_dot4_i32_iu8 v94, v169, v155, v13 neg_lo:[1,1,0]
	v_cmp_le_i32_e64 s6, s57, v15
	v_add_nc_u32_e32 v13, v26, v15
	v_dot4_i32_iu8 v78, v116, v47, v93 neg_lo:[1,1,0]
	v_dot4_i32_iu8 v93, v169, v154, v12 neg_lo:[1,1,0]
	v_add_nc_u32_e32 v12, v25, v30
	v_dot4_i32_iu8 v73, v115, v46, v180 neg_lo:[1,1,0]
	v_dot4_i32_iu8 v86, v114, v110, v97 neg_lo:[1,1,0]
	v_dot4_i32_iu8 v91, v115, v110, v92 neg_lo:[1,1,0]
	v_dot4_i32_iu8 v32, v153, v142, v32 neg_lo:[1,1,0]
	s_and_b32 s7, s5, s3
	v_cmp_le_i32_e64 s3, s59, v12
	s_wait_alu 0xfffe
	s_and_b32 s12, s7, s6
	v_cmp_gt_i32_e64 s6, s54, v13
	v_cmp_le_i32_e64 s7, s57, v13
	v_add_nc_u32_e32 v13, v176, v14
	v_cmp_gt_i32_e64 s5, s53, v12
	v_add_nc_u32_e32 v12, v27, v12
	v_dot4_i32_iu8 v43, v114, v45, v107 neg_lo:[1,1,0]
	v_dot4_i32_iu8 v48, v116, v45, v48 neg_lo:[1,1,0]
	;; [unrolled: 1-line block ×25, first 2 shown]
	ds_load_b128 v[16:19], v21 offset:18944
	ds_load_b128 v[25:28], v21 offset:19200
	v_dot4_i32_iu8 v97, v169, v158, v32 neg_lo:[1,1,0]
	ds_load_b128 v[29:32], v20 offset:2816
	s_and_b32 s13, s6, s4
	v_cmp_le_i32_e64 s6, s55, v13
	v_cmp_gt_i32_e64 s10, s27, v13
	v_cmp_le_i32_e64 s8, s59, v12
	v_cmp_gt_i32_e64 s9, s53, v12
	;; [unrolled: 2-line block ×3, first 2 shown]
	v_dot4_i32_iu8 v43, v130, v123, v43 neg_lo:[1,1,0]
	v_dot4_i32_iu8 v48, v132, v123, v48 neg_lo:[1,1,0]
	;; [unrolled: 1-line block ×10, first 2 shown]
	s_and_b32 s3, s3, s5
	s_and_b32 s5, s13, s7
	;; [unrolled: 1-line block ×5, first 2 shown]
	s_wait_alu 0xfffe
	s_and_b32 s5, s5, s6
	v_dot4_i32_iu8 v43, v146, v139, v43 neg_lo:[1,1,0]
	v_dot4_i32_iu8 v52, v146, v141, v52 neg_lo:[1,1,0]
	;; [unrolled: 1-line block ×28, first 2 shown]
	s_and_b32 s4, s12, s4
	s_wait_alu 0xfffe
	s_and_b32 s5, s7, s5
	s_and_b32 s4, s3, s4
	s_wait_alu 0xfffe
	s_and_b32 s3, s2, s5
	v_dot4_i32_iu8 v43, v162, v155, v43 neg_lo:[1,1,0]
	v_dot4_i32_iu8 v52, v162, v157, v52 neg_lo:[1,1,0]
	;; [unrolled: 1-line block ×33, first 2 shown]
	s_wait_dscnt 0x2
	v_dot4_i32_iu8 v42, v170, v16, v42 neg_lo:[1,1,0]
	v_dot4_i32_iu8 v43, v170, v17, v43 neg_lo:[1,1,0]
	;; [unrolled: 1-line block ×16, first 2 shown]
	s_wait_dscnt 0x1
	v_dot4_i32_iu8 v81, v170, v25, v81 neg_lo:[1,1,0]
	v_dot4_i32_iu8 v82, v170, v26, v82 neg_lo:[1,1,0]
	;; [unrolled: 1-line block ×13, first 2 shown]
	s_and_b32 s2, s2, s4
	s_mov_b32 s27, 0x31004000
	s_wait_loadcnt 0x1
	s_wait_alu 0xfffe
	v_cndmask_b32_e64 v9, 0, v9, s2
	s_wait_loadcnt 0x0
	v_cndmask_b32_e64 v15, 0, v100, s3
	v_dot4_i32_iu8 v100, v169, v161, v35 neg_lo:[1,1,0]
	v_cndmask_b32_e64 v12, 0, v103, s3
	v_cndmask_b32_e64 v13, 0, v102, s3
	;; [unrolled: 1-line block ×3, first 2 shown]
	v_dot4_i32_iu8 v101, v170, v28, v36 neg_lo:[1,1,0]
	v_dot4_i32_iu8 v102, v171, v28, v37 neg_lo:[1,1,0]
	;; [unrolled: 1-line block ×3, first 2 shown]
	ds_load_b128 v[33:36], v20 offset:3072
	s_wait_dscnt 0x1
	v_dot4_i32_iu8 v69, v29, v16, v69 neg_lo:[1,1,0]
	v_dot4_i32_iu8 v68, v29, v17, v68 neg_lo:[1,1,0]
	;; [unrolled: 1-line block ×15, first 2 shown]
	ds_load_b128 v[37:40], v21 offset:19456
	v_dot4_i32_iu8 v88, v32, v19, v88 neg_lo:[1,1,0]
	v_dot4_i32_iu8 v44, v29, v25, v44 neg_lo:[1,1,0]
	;; [unrolled: 1-line block ×15, first 2 shown]
	ds_load_b128 v[16:19], v21 offset:19712
	v_dot4_i32_iu8 v99, v32, v27, v99 neg_lo:[1,1,0]
	v_dot4_i32_iu8 v100, v32, v28, v100 neg_lo:[1,1,0]
	ds_load_b128 v[25:28], v20 offset:3328
	ds_load_b128 v[29:32], v20 offset:3584
	s_wait_dscnt 0x3
	v_dot4_i32_iu8 v42, v33, v37, v42 neg_lo:[1,1,0]
	v_dot4_i32_iu8 v43, v33, v38, v43 neg_lo:[1,1,0]
	v_dot4_i32_iu8 v49, v33, v39, v49 neg_lo:[1,1,0]
	v_dot4_i32_iu8 v52, v33, v40, v52 neg_lo:[1,1,0]
	v_dot4_i32_iu8 v53, v34, v37, v53 neg_lo:[1,1,0]
	v_dot4_i32_iu8 v56, v34, v38, v56 neg_lo:[1,1,0]
	v_dot4_i32_iu8 v58, v34, v39, v58 neg_lo:[1,1,0]
	v_dot4_i32_iu8 v60, v34, v40, v60 neg_lo:[1,1,0]
	v_dot4_i32_iu8 v61, v35, v37, v61 neg_lo:[1,1,0]
	v_dot4_i32_iu8 v48, v35, v38, v48 neg_lo:[1,1,0]
	v_dot4_i32_iu8 v70, v35, v39, v70 neg_lo:[1,1,0]
	v_dot4_i32_iu8 v73, v35, v40, v73 neg_lo:[1,1,0]
	v_dot4_i32_iu8 v74, v36, v37, v74 neg_lo:[1,1,0]
	v_dot4_i32_iu8 v75, v36, v38, v75 neg_lo:[1,1,0]
	v_dot4_i32_iu8 v76, v36, v39, v76 neg_lo:[1,1,0]
	v_dot4_i32_iu8 v78, v36, v40, v78 neg_lo:[1,1,0]
	s_wait_dscnt 0x2
	v_dot4_i32_iu8 v81, v33, v16, v81 neg_lo:[1,1,0]
	v_dot4_i32_iu8 v82, v33, v17, v82 neg_lo:[1,1,0]
	;; [unrolled: 1-line block ×16, first 2 shown]
	s_wait_dscnt 0x1
	v_dot4_i32_iu8 v69, v25, v37, v69 neg_lo:[1,1,0]
	v_dot4_i32_iu8 v68, v25, v38, v68 neg_lo:[1,1,0]
	;; [unrolled: 1-line block ×15, first 2 shown]
	ds_load_b128 v[33:36], v21 offset:19968
	v_dot4_i32_iu8 v88, v28, v40, v88 neg_lo:[1,1,0]
	v_dot4_i32_iu8 v44, v25, v16, v44 neg_lo:[1,1,0]
	;; [unrolled: 1-line block ×15, first 2 shown]
	ds_load_b128 v[37:40], v21 offset:20224
	v_dot4_i32_iu8 v99, v28, v18, v99 neg_lo:[1,1,0]
	v_dot4_i32_iu8 v100, v28, v19, v100 neg_lo:[1,1,0]
	ds_load_b128 v[16:19], v20 offset:3840
	ds_load_b128 v[25:28], v20 offset:4096
	s_wait_dscnt 0x3
	v_dot4_i32_iu8 v42, v29, v33, v42 neg_lo:[1,1,0]
	v_dot4_i32_iu8 v43, v29, v34, v43 neg_lo:[1,1,0]
	;; [unrolled: 1-line block ×16, first 2 shown]
	s_wait_dscnt 0x2
	v_dot4_i32_iu8 v81, v29, v37, v81 neg_lo:[1,1,0]
	v_dot4_i32_iu8 v82, v29, v38, v82 neg_lo:[1,1,0]
	;; [unrolled: 1-line block ×16, first 2 shown]
	s_wait_dscnt 0x1
	v_dot4_i32_iu8 v69, v16, v33, v69 neg_lo:[1,1,0]
	v_dot4_i32_iu8 v68, v16, v34, v68 neg_lo:[1,1,0]
	;; [unrolled: 1-line block ×15, first 2 shown]
	ds_load_b128 v[29:32], v21 offset:20480
	v_dot4_i32_iu8 v88, v19, v36, v88 neg_lo:[1,1,0]
	v_dot4_i32_iu8 v44, v16, v37, v44 neg_lo:[1,1,0]
	;; [unrolled: 1-line block ×15, first 2 shown]
	ds_load_b128 v[33:36], v21 offset:20736
	v_dot4_i32_iu8 v99, v19, v39, v99 neg_lo:[1,1,0]
	v_dot4_i32_iu8 v100, v19, v40, v100 neg_lo:[1,1,0]
	ds_load_b128 v[16:19], v20 offset:4352
	s_wait_dscnt 0x2
	v_dot4_i32_iu8 v42, v25, v29, v42 neg_lo:[1,1,0]
	v_dot4_i32_iu8 v43, v25, v30, v43 neg_lo:[1,1,0]
	;; [unrolled: 1-line block ×16, first 2 shown]
	s_wait_dscnt 0x1
	v_dot4_i32_iu8 v81, v25, v33, v81 neg_lo:[1,1,0]
	v_dot4_i32_iu8 v82, v25, v34, v82 neg_lo:[1,1,0]
	;; [unrolled: 1-line block ×16, first 2 shown]
	ds_load_b128 v[25:28], v20 offset:4608
	s_wait_dscnt 0x1
	v_dot4_i32_iu8 v69, v16, v29, v69 neg_lo:[1,1,0]
	v_dot4_i32_iu8 v68, v16, v30, v68 neg_lo:[1,1,0]
	;; [unrolled: 1-line block ×15, first 2 shown]
	ds_load_b128 v[37:40], v21 offset:20992
	v_dot4_i32_iu8 v88, v19, v32, v88 neg_lo:[1,1,0]
	v_dot4_i32_iu8 v44, v16, v33, v44 neg_lo:[1,1,0]
	;; [unrolled: 1-line block ×15, first 2 shown]
	ds_load_b128 v[29:32], v21 offset:21248
	v_dot4_i32_iu8 v99, v19, v35, v99 neg_lo:[1,1,0]
	v_dot4_i32_iu8 v100, v19, v36, v100 neg_lo:[1,1,0]
	ds_load_b128 v[16:19], v20 offset:4864
	s_wait_dscnt 0x2
	v_dot4_i32_iu8 v42, v25, v37, v42 neg_lo:[1,1,0]
	v_dot4_i32_iu8 v43, v25, v38, v43 neg_lo:[1,1,0]
	;; [unrolled: 1-line block ×16, first 2 shown]
	s_wait_dscnt 0x1
	v_dot4_i32_iu8 v81, v25, v29, v81 neg_lo:[1,1,0]
	v_dot4_i32_iu8 v82, v25, v30, v82 neg_lo:[1,1,0]
	;; [unrolled: 1-line block ×16, first 2 shown]
	ds_load_b128 v[25:28], v20 offset:5120
	s_wait_dscnt 0x1
	v_dot4_i32_iu8 v69, v16, v37, v69 neg_lo:[1,1,0]
	v_dot4_i32_iu8 v68, v16, v38, v68 neg_lo:[1,1,0]
	;; [unrolled: 1-line block ×15, first 2 shown]
	ds_load_b128 v[33:36], v21 offset:21504
	v_dot4_i32_iu8 v88, v19, v40, v88 neg_lo:[1,1,0]
	v_dot4_i32_iu8 v44, v16, v29, v44 neg_lo:[1,1,0]
	;; [unrolled: 1-line block ×15, first 2 shown]
	ds_load_b128 v[37:40], v21 offset:21760
	v_dot4_i32_iu8 v99, v19, v31, v99 neg_lo:[1,1,0]
	v_dot4_i32_iu8 v100, v19, v32, v100 neg_lo:[1,1,0]
	ds_load_b128 v[16:19], v20 offset:5376
	s_wait_dscnt 0x2
	v_dot4_i32_iu8 v42, v25, v33, v42 neg_lo:[1,1,0]
	v_dot4_i32_iu8 v43, v25, v34, v43 neg_lo:[1,1,0]
	;; [unrolled: 1-line block ×16, first 2 shown]
	s_wait_dscnt 0x1
	v_dot4_i32_iu8 v81, v25, v37, v81 neg_lo:[1,1,0]
	v_dot4_i32_iu8 v82, v25, v38, v82 neg_lo:[1,1,0]
	;; [unrolled: 1-line block ×16, first 2 shown]
	ds_load_b128 v[25:28], v20 offset:5632
	s_wait_dscnt 0x1
	v_dot4_i32_iu8 v69, v16, v33, v69 neg_lo:[1,1,0]
	v_dot4_i32_iu8 v68, v16, v34, v68 neg_lo:[1,1,0]
	;; [unrolled: 1-line block ×15, first 2 shown]
	ds_load_b128 v[29:32], v21 offset:22016
	v_dot4_i32_iu8 v88, v19, v36, v88 neg_lo:[1,1,0]
	v_dot4_i32_iu8 v44, v16, v37, v44 neg_lo:[1,1,0]
	;; [unrolled: 1-line block ×15, first 2 shown]
	ds_load_b128 v[33:36], v21 offset:22272
	v_dot4_i32_iu8 v99, v19, v39, v99 neg_lo:[1,1,0]
	v_dot4_i32_iu8 v100, v19, v40, v100 neg_lo:[1,1,0]
	ds_load_b128 v[16:19], v20 offset:5888
	s_wait_dscnt 0x2
	v_dot4_i32_iu8 v42, v25, v29, v42 neg_lo:[1,1,0]
	v_dot4_i32_iu8 v43, v25, v30, v43 neg_lo:[1,1,0]
	v_dot4_i32_iu8 v49, v25, v31, v49 neg_lo:[1,1,0]
	v_dot4_i32_iu8 v52, v25, v32, v52 neg_lo:[1,1,0]
	v_dot4_i32_iu8 v53, v26, v29, v53 neg_lo:[1,1,0]
	v_dot4_i32_iu8 v56, v26, v30, v56 neg_lo:[1,1,0]
	v_dot4_i32_iu8 v58, v26, v31, v58 neg_lo:[1,1,0]
	v_dot4_i32_iu8 v60, v26, v32, v60 neg_lo:[1,1,0]
	v_dot4_i32_iu8 v61, v27, v29, v61 neg_lo:[1,1,0]
	v_dot4_i32_iu8 v48, v27, v30, v48 neg_lo:[1,1,0]
	v_dot4_i32_iu8 v70, v27, v31, v70 neg_lo:[1,1,0]
	v_dot4_i32_iu8 v73, v27, v32, v73 neg_lo:[1,1,0]
	v_dot4_i32_iu8 v74, v28, v29, v74 neg_lo:[1,1,0]
	v_dot4_i32_iu8 v75, v28, v30, v75 neg_lo:[1,1,0]
	v_dot4_i32_iu8 v76, v28, v31, v76 neg_lo:[1,1,0]
	v_dot4_i32_iu8 v78, v28, v32, v78 neg_lo:[1,1,0]
	s_wait_dscnt 0x1
	v_dot4_i32_iu8 v81, v25, v33, v81 neg_lo:[1,1,0]
	v_dot4_i32_iu8 v82, v25, v34, v82 neg_lo:[1,1,0]
	;; [unrolled: 1-line block ×16, first 2 shown]
	ds_load_b128 v[25:28], v20 offset:6144
	s_wait_dscnt 0x1
	v_dot4_i32_iu8 v69, v16, v29, v69 neg_lo:[1,1,0]
	v_dot4_i32_iu8 v68, v16, v30, v68 neg_lo:[1,1,0]
	v_dot4_i32_iu8 v67, v16, v31, v67 neg_lo:[1,1,0]
	v_dot4_i32_iu8 v66, v16, v32, v66 neg_lo:[1,1,0]
	v_dot4_i32_iu8 v65, v17, v29, v65 neg_lo:[1,1,0]
	v_dot4_i32_iu8 v64, v17, v30, v64 neg_lo:[1,1,0]
	v_dot4_i32_iu8 v63, v17, v31, v63 neg_lo:[1,1,0]
	v_dot4_i32_iu8 v62, v17, v32, v62 neg_lo:[1,1,0]
	v_dot4_i32_iu8 v59, v18, v29, v59 neg_lo:[1,1,0]
	v_dot4_i32_iu8 v57, v18, v30, v57 neg_lo:[1,1,0]
	v_dot4_i32_iu8 v55, v18, v31, v55 neg_lo:[1,1,0]
	v_dot4_i32_iu8 v54, v18, v32, v54 neg_lo:[1,1,0]
	v_dot4_i32_iu8 v93, v19, v29, v93 neg_lo:[1,1,0]
	v_dot4_i32_iu8 v94, v19, v30, v94 neg_lo:[1,1,0]
	v_dot4_i32_iu8 v95, v19, v31, v95 neg_lo:[1,1,0]
	ds_load_b128 v[37:40], v21 offset:22528
	v_dot4_i32_iu8 v88, v19, v32, v88 neg_lo:[1,1,0]
	v_dot4_i32_iu8 v44, v16, v33, v44 neg_lo:[1,1,0]
	;; [unrolled: 1-line block ×15, first 2 shown]
	ds_load_b128 v[29:32], v21 offset:22784
	v_dot4_i32_iu8 v99, v19, v35, v99 neg_lo:[1,1,0]
	v_dot4_i32_iu8 v100, v19, v36, v100 neg_lo:[1,1,0]
	ds_load_b128 v[16:19], v20 offset:6400
	s_wait_dscnt 0x2
	v_dot4_i32_iu8 v42, v25, v37, v42 neg_lo:[1,1,0]
	v_dot4_i32_iu8 v43, v25, v38, v43 neg_lo:[1,1,0]
	;; [unrolled: 1-line block ×16, first 2 shown]
	s_wait_dscnt 0x1
	v_dot4_i32_iu8 v81, v25, v29, v81 neg_lo:[1,1,0]
	v_dot4_i32_iu8 v82, v25, v30, v82 neg_lo:[1,1,0]
	;; [unrolled: 1-line block ×16, first 2 shown]
	ds_load_b128 v[25:28], v20 offset:6656
	s_wait_dscnt 0x1
	v_dot4_i32_iu8 v69, v16, v37, v69 neg_lo:[1,1,0]
	v_dot4_i32_iu8 v68, v16, v38, v68 neg_lo:[1,1,0]
	;; [unrolled: 1-line block ×15, first 2 shown]
	ds_load_b128 v[33:36], v21 offset:23040
	v_dot4_i32_iu8 v88, v19, v40, v88 neg_lo:[1,1,0]
	v_dot4_i32_iu8 v44, v16, v29, v44 neg_lo:[1,1,0]
	;; [unrolled: 1-line block ×15, first 2 shown]
	ds_load_b128 v[37:40], v21 offset:23296
	v_dot4_i32_iu8 v99, v19, v31, v99 neg_lo:[1,1,0]
	v_dot4_i32_iu8 v100, v19, v32, v100 neg_lo:[1,1,0]
	ds_load_b128 v[16:19], v20 offset:6912
	s_wait_dscnt 0x2
	v_dot4_i32_iu8 v42, v25, v33, v42 neg_lo:[1,1,0]
	v_dot4_i32_iu8 v43, v25, v34, v43 neg_lo:[1,1,0]
	;; [unrolled: 1-line block ×16, first 2 shown]
	s_wait_dscnt 0x1
	v_dot4_i32_iu8 v81, v25, v37, v81 neg_lo:[1,1,0]
	v_dot4_i32_iu8 v82, v25, v38, v82 neg_lo:[1,1,0]
	;; [unrolled: 1-line block ×16, first 2 shown]
	ds_load_b128 v[25:28], v20 offset:7168
	s_wait_dscnt 0x1
	v_dot4_i32_iu8 v69, v16, v33, v69 neg_lo:[1,1,0]
	v_dot4_i32_iu8 v68, v16, v34, v68 neg_lo:[1,1,0]
	;; [unrolled: 1-line block ×15, first 2 shown]
	ds_load_b128 v[29:32], v21 offset:23552
	v_dot4_i32_iu8 v88, v19, v36, v88 neg_lo:[1,1,0]
	v_dot4_i32_iu8 v44, v16, v37, v44 neg_lo:[1,1,0]
	;; [unrolled: 1-line block ×15, first 2 shown]
	ds_load_b128 v[33:36], v21 offset:23808
	v_dot4_i32_iu8 v99, v19, v39, v99 neg_lo:[1,1,0]
	v_dot4_i32_iu8 v100, v19, v40, v100 neg_lo:[1,1,0]
	ds_load_b128 v[16:19], v20 offset:7424
	s_wait_dscnt 0x2
	v_dot4_i32_iu8 v42, v25, v29, v42 neg_lo:[1,1,0]
	v_dot4_i32_iu8 v43, v25, v30, v43 neg_lo:[1,1,0]
	;; [unrolled: 1-line block ×16, first 2 shown]
	s_wait_dscnt 0x1
	v_dot4_i32_iu8 v81, v25, v33, v81 neg_lo:[1,1,0]
	v_dot4_i32_iu8 v82, v25, v34, v82 neg_lo:[1,1,0]
	v_dot4_i32_iu8 v83, v25, v35, v83 neg_lo:[1,1,0]
	v_dot4_i32_iu8 v101, v25, v36, v101 neg_lo:[1,1,0]
	v_dot4_i32_iu8 v85, v26, v33, v85 neg_lo:[1,1,0]
	v_dot4_i32_iu8 v86, v26, v34, v86 neg_lo:[1,1,0]
	v_dot4_i32_iu8 v87, v26, v35, v87 neg_lo:[1,1,0]
	v_dot4_i32_iu8 v102, v26, v36, v102 neg_lo:[1,1,0]
	v_dot4_i32_iu8 v84, v27, v33, v84 neg_lo:[1,1,0]
	v_dot4_i32_iu8 v80, v27, v34, v80 neg_lo:[1,1,0]
	v_dot4_i32_iu8 v79, v27, v35, v79 neg_lo:[1,1,0]
	v_dot4_i32_iu8 v103, v27, v36, v103 neg_lo:[1,1,0]
	v_dot4_i32_iu8 v77, v28, v33, v77 neg_lo:[1,1,0]
	v_dot4_i32_iu8 v72, v28, v34, v72 neg_lo:[1,1,0]
	v_dot4_i32_iu8 v71, v28, v35, v71 neg_lo:[1,1,0]
	v_dot4_i32_iu8 v104, v28, v36, v104 neg_lo:[1,1,0]
	ds_load_b128 v[25:28], v20 offset:7680
	s_wait_dscnt 0x1
	v_dot4_i32_iu8 v69, v16, v29, v69 neg_lo:[1,1,0]
	v_dot4_i32_iu8 v68, v16, v30, v68 neg_lo:[1,1,0]
	;; [unrolled: 1-line block ×15, first 2 shown]
	ds_load_b128 v[37:40], v21 offset:24064
	v_dot4_i32_iu8 v88, v19, v32, v88 neg_lo:[1,1,0]
	v_dot4_i32_iu8 v44, v16, v33, v44 neg_lo:[1,1,0]
	;; [unrolled: 1-line block ×15, first 2 shown]
	ds_load_b128 v[29:32], v21 offset:24320
	v_dot4_i32_iu8 v35, v19, v35, v99 neg_lo:[1,1,0]
	v_dot4_i32_iu8 v36, v19, v36, v100 neg_lo:[1,1,0]
	ds_load_b128 v[16:19], v20 offset:7936
	v_cndmask_b32_e64 v8, 0, v8, s2
	v_cndmask_b32_e64 v11, 0, v11, s2
	;; [unrolled: 1-line block ×3, first 2 shown]
	ds_store_2addr_stride64_b32 v24, v8, v9 offset0:32 offset1:34
	ds_store_2addr_stride64_b32 v24, v10, v11 offset0:36 offset1:38
	;; [unrolled: 1-line block ×8, first 2 shown]
	s_wait_dscnt 0x0
	s_barrier_signal -1
	s_barrier_wait -1
	ds_load_b128 v[0:3], v20 offset:8192
	ds_load_b128 v[4:7], v21 offset:24576
	;; [unrolled: 1-line block ×4, first 2 shown]
	v_dot4_i32_iu8 v42, v25, v37, v42 neg_lo:[1,1,0]
	v_dot4_i32_iu8 v43, v25, v38, v43 neg_lo:[1,1,0]
	;; [unrolled: 1-line block ×64, first 2 shown]
	s_wait_dscnt 0x2
	v_dot4_i32_iu8 v33, v0, v4, v42 neg_lo:[1,1,0]
	v_dot4_i32_iu8 v34, v0, v5, v43 neg_lo:[1,1,0]
	;; [unrolled: 1-line block ×16, first 2 shown]
	ds_load_b128 v[16:19], v21 offset:25088
	s_wait_dscnt 0x2
	v_dot4_i32_iu8 v74, v0, v8, v81 neg_lo:[1,1,0]
	v_dot4_i32_iu8 v75, v0, v9, v82 neg_lo:[1,1,0]
	;; [unrolled: 1-line block ×16, first 2 shown]
	ds_load_b128 v[0:3], v20 offset:8704
	s_wait_dscnt 0x2
	v_dot4_i32_iu8 v69, v12, v4, v69 neg_lo:[1,1,0]
	v_dot4_i32_iu8 v68, v12, v5, v68 neg_lo:[1,1,0]
	;; [unrolled: 1-line block ×30, first 2 shown]
	ds_load_b128 v[4:7], v21 offset:25344
	v_dot4_i32_iu8 v31, v15, v10, v31 neg_lo:[1,1,0]
	v_dot4_i32_iu8 v32, v15, v11, v32 neg_lo:[1,1,0]
	ds_load_b128 v[8:11], v20 offset:8960
	s_wait_dscnt 0x2
	v_dot4_i32_iu8 v33, v0, v16, v33 neg_lo:[1,1,0]
	v_dot4_i32_iu8 v34, v0, v17, v34 neg_lo:[1,1,0]
	v_dot4_i32_iu8 v35, v0, v18, v35 neg_lo:[1,1,0]
	v_dot4_i32_iu8 v36, v0, v19, v36 neg_lo:[1,1,0]
	v_dot4_i32_iu8 v42, v1, v16, v42 neg_lo:[1,1,0]
	v_dot4_i32_iu8 v43, v1, v17, v43 neg_lo:[1,1,0]
	v_dot4_i32_iu8 v49, v1, v18, v49 neg_lo:[1,1,0]
	v_dot4_i32_iu8 v52, v1, v19, v52 neg_lo:[1,1,0]
	v_dot4_i32_iu8 v53, v2, v16, v53 neg_lo:[1,1,0]
	v_dot4_i32_iu8 v48, v2, v17, v48 neg_lo:[1,1,0]
	v_dot4_i32_iu8 v56, v2, v18, v56 neg_lo:[1,1,0]
	v_dot4_i32_iu8 v58, v2, v19, v58 neg_lo:[1,1,0]
	v_dot4_i32_iu8 v60, v3, v16, v60 neg_lo:[1,1,0]
	v_dot4_i32_iu8 v61, v3, v17, v61 neg_lo:[1,1,0]
	v_dot4_i32_iu8 v70, v3, v18, v70 neg_lo:[1,1,0]
	v_dot4_i32_iu8 v73, v3, v19, v73 neg_lo:[1,1,0]
	ds_load_b128 v[12:15], v21 offset:25600
	s_wait_dscnt 0x2
	v_dot4_i32_iu8 v74, v0, v4, v74 neg_lo:[1,1,0]
	v_dot4_i32_iu8 v75, v0, v5, v75 neg_lo:[1,1,0]
	v_dot4_i32_iu8 v76, v0, v6, v76 neg_lo:[1,1,0]
	v_dot4_i32_iu8 v25, v0, v7, v25 neg_lo:[1,1,0]
	v_dot4_i32_iu8 v78, v1, v4, v78 neg_lo:[1,1,0]
	v_dot4_i32_iu8 v81, v1, v5, v81 neg_lo:[1,1,0]
	v_dot4_i32_iu8 v82, v1, v6, v82 neg_lo:[1,1,0]
	v_dot4_i32_iu8 v26, v1, v7, v26 neg_lo:[1,1,0]
	v_dot4_i32_iu8 v83, v2, v4, v83 neg_lo:[1,1,0]
	v_dot4_i32_iu8 v80, v2, v5, v80 neg_lo:[1,1,0]
	v_dot4_i32_iu8 v79, v2, v6, v79 neg_lo:[1,1,0]
	v_dot4_i32_iu8 v27, v2, v7, v27 neg_lo:[1,1,0]
	v_dot4_i32_iu8 v77, v3, v4, v77 neg_lo:[1,1,0]
	v_dot4_i32_iu8 v72, v3, v5, v72 neg_lo:[1,1,0]
	;; [unrolled: 18-line block ×3, first 2 shown]
	v_dot4_i32_iu8 v39, v11, v18, v39 neg_lo:[1,1,0]
	v_dot4_i32_iu8 v24, v11, v19, v24 neg_lo:[1,1,0]
	;; [unrolled: 1-line block ×16, first 2 shown]
	ds_load_b128 v[16:19], v21 offset:25856
	v_dot4_i32_iu8 v31, v11, v6, v31 neg_lo:[1,1,0]
	v_dot4_i32_iu8 v32, v11, v7, v32 neg_lo:[1,1,0]
	ds_load_b128 v[4:7], v20 offset:9472
	s_wait_dscnt 0x2
	v_dot4_i32_iu8 v33, v0, v12, v33 neg_lo:[1,1,0]
	v_dot4_i32_iu8 v34, v0, v13, v34 neg_lo:[1,1,0]
	v_dot4_i32_iu8 v35, v0, v14, v35 neg_lo:[1,1,0]
	v_dot4_i32_iu8 v36, v0, v15, v36 neg_lo:[1,1,0]
	v_dot4_i32_iu8 v42, v1, v12, v42 neg_lo:[1,1,0]
	v_dot4_i32_iu8 v43, v1, v13, v43 neg_lo:[1,1,0]
	v_dot4_i32_iu8 v49, v1, v14, v49 neg_lo:[1,1,0]
	v_dot4_i32_iu8 v52, v1, v15, v52 neg_lo:[1,1,0]
	v_dot4_i32_iu8 v53, v2, v12, v53 neg_lo:[1,1,0]
	v_dot4_i32_iu8 v48, v2, v13, v48 neg_lo:[1,1,0]
	v_dot4_i32_iu8 v56, v2, v14, v56 neg_lo:[1,1,0]
	v_dot4_i32_iu8 v58, v2, v15, v58 neg_lo:[1,1,0]
	v_dot4_i32_iu8 v60, v3, v12, v60 neg_lo:[1,1,0]
	v_dot4_i32_iu8 v61, v3, v13, v61 neg_lo:[1,1,0]
	v_dot4_i32_iu8 v70, v3, v14, v70 neg_lo:[1,1,0]
	v_dot4_i32_iu8 v73, v3, v15, v73 neg_lo:[1,1,0]
	ds_load_b128 v[8:11], v21 offset:26112
	s_wait_dscnt 0x2
	v_dot4_i32_iu8 v74, v0, v16, v74 neg_lo:[1,1,0]
	v_dot4_i32_iu8 v75, v0, v17, v75 neg_lo:[1,1,0]
	v_dot4_i32_iu8 v76, v0, v18, v76 neg_lo:[1,1,0]
	v_dot4_i32_iu8 v25, v0, v19, v25 neg_lo:[1,1,0]
	v_dot4_i32_iu8 v78, v1, v16, v78 neg_lo:[1,1,0]
	v_dot4_i32_iu8 v81, v1, v17, v81 neg_lo:[1,1,0]
	v_dot4_i32_iu8 v82, v1, v18, v82 neg_lo:[1,1,0]
	v_dot4_i32_iu8 v26, v1, v19, v26 neg_lo:[1,1,0]
	v_dot4_i32_iu8 v83, v2, v16, v83 neg_lo:[1,1,0]
	v_dot4_i32_iu8 v80, v2, v17, v80 neg_lo:[1,1,0]
	v_dot4_i32_iu8 v79, v2, v18, v79 neg_lo:[1,1,0]
	v_dot4_i32_iu8 v27, v2, v19, v27 neg_lo:[1,1,0]
	v_dot4_i32_iu8 v77, v3, v16, v77 neg_lo:[1,1,0]
	v_dot4_i32_iu8 v72, v3, v17, v72 neg_lo:[1,1,0]
	;; [unrolled: 18-line block ×3, first 2 shown]
	v_dot4_i32_iu8 v39, v7, v14, v39 neg_lo:[1,1,0]
	v_dot4_i32_iu8 v24, v7, v15, v24 neg_lo:[1,1,0]
	v_dot4_i32_iu8 v40, v4, v16, v40 neg_lo:[1,1,0]
	v_dot4_i32_iu8 v44, v4, v17, v44 neg_lo:[1,1,0]
	v_dot4_i32_iu8 v45, v4, v18, v45 neg_lo:[1,1,0]
	v_dot4_i32_iu8 v46, v4, v19, v46 neg_lo:[1,1,0]
	v_dot4_i32_iu8 v47, v5, v16, v47 neg_lo:[1,1,0]
	v_dot4_i32_iu8 v51, v5, v17, v51 neg_lo:[1,1,0]
	v_dot4_i32_iu8 v50, v5, v18, v50 neg_lo:[1,1,0]
	v_dot4_i32_iu8 v41, v5, v19, v41 neg_lo:[1,1,0]
	v_dot4_i32_iu8 v84, v6, v16, v84 neg_lo:[1,1,0]
	v_dot4_i32_iu8 v85, v6, v17, v85 neg_lo:[1,1,0]
	v_dot4_i32_iu8 v86, v6, v18, v86 neg_lo:[1,1,0]
	v_dot4_i32_iu8 v87, v6, v19, v87 neg_lo:[1,1,0]
	v_dot4_i32_iu8 v29, v7, v16, v29 neg_lo:[1,1,0]
	v_dot4_i32_iu8 v30, v7, v17, v30 neg_lo:[1,1,0]
	ds_load_b128 v[12:15], v21 offset:26368
	v_dot4_i32_iu8 v31, v7, v18, v31 neg_lo:[1,1,0]
	v_dot4_i32_iu8 v32, v7, v19, v32 neg_lo:[1,1,0]
	ds_load_b128 v[4:7], v20 offset:9984
	s_wait_dscnt 0x2
	v_dot4_i32_iu8 v33, v0, v8, v33 neg_lo:[1,1,0]
	v_dot4_i32_iu8 v34, v0, v9, v34 neg_lo:[1,1,0]
	v_dot4_i32_iu8 v35, v0, v10, v35 neg_lo:[1,1,0]
	v_dot4_i32_iu8 v36, v0, v11, v36 neg_lo:[1,1,0]
	v_dot4_i32_iu8 v42, v1, v8, v42 neg_lo:[1,1,0]
	v_dot4_i32_iu8 v43, v1, v9, v43 neg_lo:[1,1,0]
	v_dot4_i32_iu8 v49, v1, v10, v49 neg_lo:[1,1,0]
	v_dot4_i32_iu8 v52, v1, v11, v52 neg_lo:[1,1,0]
	v_dot4_i32_iu8 v53, v2, v8, v53 neg_lo:[1,1,0]
	v_dot4_i32_iu8 v48, v2, v9, v48 neg_lo:[1,1,0]
	v_dot4_i32_iu8 v56, v2, v10, v56 neg_lo:[1,1,0]
	v_dot4_i32_iu8 v58, v2, v11, v58 neg_lo:[1,1,0]
	v_dot4_i32_iu8 v60, v3, v8, v60 neg_lo:[1,1,0]
	v_dot4_i32_iu8 v61, v3, v9, v61 neg_lo:[1,1,0]
	v_dot4_i32_iu8 v70, v3, v10, v70 neg_lo:[1,1,0]
	v_dot4_i32_iu8 v73, v3, v11, v73 neg_lo:[1,1,0]
	ds_load_b128 v[16:19], v21 offset:26624
	s_wait_dscnt 0x2
	v_dot4_i32_iu8 v74, v0, v12, v74 neg_lo:[1,1,0]
	v_dot4_i32_iu8 v75, v0, v13, v75 neg_lo:[1,1,0]
	v_dot4_i32_iu8 v76, v0, v14, v76 neg_lo:[1,1,0]
	v_dot4_i32_iu8 v25, v0, v15, v25 neg_lo:[1,1,0]
	v_dot4_i32_iu8 v78, v1, v12, v78 neg_lo:[1,1,0]
	v_dot4_i32_iu8 v81, v1, v13, v81 neg_lo:[1,1,0]
	v_dot4_i32_iu8 v82, v1, v14, v82 neg_lo:[1,1,0]
	v_dot4_i32_iu8 v26, v1, v15, v26 neg_lo:[1,1,0]
	v_dot4_i32_iu8 v83, v2, v12, v83 neg_lo:[1,1,0]
	v_dot4_i32_iu8 v80, v2, v13, v80 neg_lo:[1,1,0]
	v_dot4_i32_iu8 v79, v2, v14, v79 neg_lo:[1,1,0]
	v_dot4_i32_iu8 v27, v2, v15, v27 neg_lo:[1,1,0]
	v_dot4_i32_iu8 v77, v3, v12, v77 neg_lo:[1,1,0]
	v_dot4_i32_iu8 v72, v3, v13, v72 neg_lo:[1,1,0]
	;; [unrolled: 18-line block ×3, first 2 shown]
	v_dot4_i32_iu8 v39, v7, v10, v39 neg_lo:[1,1,0]
	v_dot4_i32_iu8 v24, v7, v11, v24 neg_lo:[1,1,0]
	;; [unrolled: 1-line block ×16, first 2 shown]
	ds_load_b128 v[8:11], v21 offset:26880
	v_dot4_i32_iu8 v31, v7, v14, v31 neg_lo:[1,1,0]
	v_dot4_i32_iu8 v32, v7, v15, v32 neg_lo:[1,1,0]
	ds_load_b128 v[4:7], v20 offset:10496
	s_wait_dscnt 0x2
	v_dot4_i32_iu8 v33, v0, v16, v33 neg_lo:[1,1,0]
	v_dot4_i32_iu8 v34, v0, v17, v34 neg_lo:[1,1,0]
	v_dot4_i32_iu8 v35, v0, v18, v35 neg_lo:[1,1,0]
	v_dot4_i32_iu8 v36, v0, v19, v36 neg_lo:[1,1,0]
	v_dot4_i32_iu8 v42, v1, v16, v42 neg_lo:[1,1,0]
	v_dot4_i32_iu8 v43, v1, v17, v43 neg_lo:[1,1,0]
	v_dot4_i32_iu8 v49, v1, v18, v49 neg_lo:[1,1,0]
	v_dot4_i32_iu8 v52, v1, v19, v52 neg_lo:[1,1,0]
	v_dot4_i32_iu8 v53, v2, v16, v53 neg_lo:[1,1,0]
	v_dot4_i32_iu8 v48, v2, v17, v48 neg_lo:[1,1,0]
	v_dot4_i32_iu8 v56, v2, v18, v56 neg_lo:[1,1,0]
	v_dot4_i32_iu8 v58, v2, v19, v58 neg_lo:[1,1,0]
	v_dot4_i32_iu8 v60, v3, v16, v60 neg_lo:[1,1,0]
	v_dot4_i32_iu8 v61, v3, v17, v61 neg_lo:[1,1,0]
	v_dot4_i32_iu8 v70, v3, v18, v70 neg_lo:[1,1,0]
	v_dot4_i32_iu8 v73, v3, v19, v73 neg_lo:[1,1,0]
	ds_load_b128 v[12:15], v21 offset:27136
	s_wait_dscnt 0x2
	v_dot4_i32_iu8 v74, v0, v8, v74 neg_lo:[1,1,0]
	v_dot4_i32_iu8 v75, v0, v9, v75 neg_lo:[1,1,0]
	v_dot4_i32_iu8 v76, v0, v10, v76 neg_lo:[1,1,0]
	v_dot4_i32_iu8 v25, v0, v11, v25 neg_lo:[1,1,0]
	v_dot4_i32_iu8 v78, v1, v8, v78 neg_lo:[1,1,0]
	v_dot4_i32_iu8 v81, v1, v9, v81 neg_lo:[1,1,0]
	v_dot4_i32_iu8 v82, v1, v10, v82 neg_lo:[1,1,0]
	v_dot4_i32_iu8 v26, v1, v11, v26 neg_lo:[1,1,0]
	v_dot4_i32_iu8 v83, v2, v8, v83 neg_lo:[1,1,0]
	v_dot4_i32_iu8 v80, v2, v9, v80 neg_lo:[1,1,0]
	v_dot4_i32_iu8 v79, v2, v10, v79 neg_lo:[1,1,0]
	v_dot4_i32_iu8 v27, v2, v11, v27 neg_lo:[1,1,0]
	v_dot4_i32_iu8 v77, v3, v8, v77 neg_lo:[1,1,0]
	v_dot4_i32_iu8 v72, v3, v9, v72 neg_lo:[1,1,0]
	;; [unrolled: 18-line block ×3, first 2 shown]
	v_dot4_i32_iu8 v39, v7, v18, v39 neg_lo:[1,1,0]
	v_dot4_i32_iu8 v24, v7, v19, v24 neg_lo:[1,1,0]
	;; [unrolled: 1-line block ×16, first 2 shown]
	ds_load_b128 v[16:19], v21 offset:27392
	v_dot4_i32_iu8 v31, v7, v10, v31 neg_lo:[1,1,0]
	v_dot4_i32_iu8 v32, v7, v11, v32 neg_lo:[1,1,0]
	ds_load_b128 v[4:7], v20 offset:11008
	s_wait_dscnt 0x2
	v_dot4_i32_iu8 v33, v0, v12, v33 neg_lo:[1,1,0]
	v_dot4_i32_iu8 v34, v0, v13, v34 neg_lo:[1,1,0]
	v_dot4_i32_iu8 v35, v0, v14, v35 neg_lo:[1,1,0]
	v_dot4_i32_iu8 v36, v0, v15, v36 neg_lo:[1,1,0]
	v_dot4_i32_iu8 v42, v1, v12, v42 neg_lo:[1,1,0]
	v_dot4_i32_iu8 v43, v1, v13, v43 neg_lo:[1,1,0]
	v_dot4_i32_iu8 v49, v1, v14, v49 neg_lo:[1,1,0]
	v_dot4_i32_iu8 v52, v1, v15, v52 neg_lo:[1,1,0]
	v_dot4_i32_iu8 v53, v2, v12, v53 neg_lo:[1,1,0]
	v_dot4_i32_iu8 v48, v2, v13, v48 neg_lo:[1,1,0]
	v_dot4_i32_iu8 v56, v2, v14, v56 neg_lo:[1,1,0]
	v_dot4_i32_iu8 v58, v2, v15, v58 neg_lo:[1,1,0]
	v_dot4_i32_iu8 v60, v3, v12, v60 neg_lo:[1,1,0]
	v_dot4_i32_iu8 v61, v3, v13, v61 neg_lo:[1,1,0]
	v_dot4_i32_iu8 v70, v3, v14, v70 neg_lo:[1,1,0]
	v_dot4_i32_iu8 v73, v3, v15, v73 neg_lo:[1,1,0]
	ds_load_b128 v[8:11], v21 offset:27648
	s_wait_dscnt 0x2
	v_dot4_i32_iu8 v74, v0, v16, v74 neg_lo:[1,1,0]
	v_dot4_i32_iu8 v75, v0, v17, v75 neg_lo:[1,1,0]
	v_dot4_i32_iu8 v76, v0, v18, v76 neg_lo:[1,1,0]
	v_dot4_i32_iu8 v25, v0, v19, v25 neg_lo:[1,1,0]
	v_dot4_i32_iu8 v78, v1, v16, v78 neg_lo:[1,1,0]
	v_dot4_i32_iu8 v81, v1, v17, v81 neg_lo:[1,1,0]
	v_dot4_i32_iu8 v82, v1, v18, v82 neg_lo:[1,1,0]
	v_dot4_i32_iu8 v26, v1, v19, v26 neg_lo:[1,1,0]
	v_dot4_i32_iu8 v83, v2, v16, v83 neg_lo:[1,1,0]
	v_dot4_i32_iu8 v80, v2, v17, v80 neg_lo:[1,1,0]
	v_dot4_i32_iu8 v79, v2, v18, v79 neg_lo:[1,1,0]
	v_dot4_i32_iu8 v27, v2, v19, v27 neg_lo:[1,1,0]
	v_dot4_i32_iu8 v77, v3, v16, v77 neg_lo:[1,1,0]
	v_dot4_i32_iu8 v72, v3, v17, v72 neg_lo:[1,1,0]
	;; [unrolled: 18-line block ×3, first 2 shown]
	v_dot4_i32_iu8 v39, v7, v14, v39 neg_lo:[1,1,0]
	v_dot4_i32_iu8 v24, v7, v15, v24 neg_lo:[1,1,0]
	;; [unrolled: 1-line block ×16, first 2 shown]
	ds_load_b128 v[12:15], v21 offset:27904
	v_dot4_i32_iu8 v31, v7, v18, v31 neg_lo:[1,1,0]
	v_dot4_i32_iu8 v32, v7, v19, v32 neg_lo:[1,1,0]
	ds_load_b128 v[4:7], v20 offset:11520
	s_wait_dscnt 0x2
	v_dot4_i32_iu8 v33, v0, v8, v33 neg_lo:[1,1,0]
	v_dot4_i32_iu8 v34, v0, v9, v34 neg_lo:[1,1,0]
	v_dot4_i32_iu8 v35, v0, v10, v35 neg_lo:[1,1,0]
	v_dot4_i32_iu8 v36, v0, v11, v36 neg_lo:[1,1,0]
	v_dot4_i32_iu8 v42, v1, v8, v42 neg_lo:[1,1,0]
	v_dot4_i32_iu8 v43, v1, v9, v43 neg_lo:[1,1,0]
	v_dot4_i32_iu8 v49, v1, v10, v49 neg_lo:[1,1,0]
	v_dot4_i32_iu8 v52, v1, v11, v52 neg_lo:[1,1,0]
	v_dot4_i32_iu8 v53, v2, v8, v53 neg_lo:[1,1,0]
	v_dot4_i32_iu8 v48, v2, v9, v48 neg_lo:[1,1,0]
	v_dot4_i32_iu8 v56, v2, v10, v56 neg_lo:[1,1,0]
	v_dot4_i32_iu8 v58, v2, v11, v58 neg_lo:[1,1,0]
	v_dot4_i32_iu8 v60, v3, v8, v60 neg_lo:[1,1,0]
	v_dot4_i32_iu8 v61, v3, v9, v61 neg_lo:[1,1,0]
	v_dot4_i32_iu8 v70, v3, v10, v70 neg_lo:[1,1,0]
	v_dot4_i32_iu8 v73, v3, v11, v73 neg_lo:[1,1,0]
	ds_load_b128 v[16:19], v21 offset:28160
	s_wait_dscnt 0x2
	v_dot4_i32_iu8 v74, v0, v12, v74 neg_lo:[1,1,0]
	v_dot4_i32_iu8 v75, v0, v13, v75 neg_lo:[1,1,0]
	v_dot4_i32_iu8 v76, v0, v14, v76 neg_lo:[1,1,0]
	v_dot4_i32_iu8 v25, v0, v15, v25 neg_lo:[1,1,0]
	v_dot4_i32_iu8 v78, v1, v12, v78 neg_lo:[1,1,0]
	v_dot4_i32_iu8 v81, v1, v13, v81 neg_lo:[1,1,0]
	v_dot4_i32_iu8 v82, v1, v14, v82 neg_lo:[1,1,0]
	v_dot4_i32_iu8 v26, v1, v15, v26 neg_lo:[1,1,0]
	v_dot4_i32_iu8 v83, v2, v12, v83 neg_lo:[1,1,0]
	v_dot4_i32_iu8 v80, v2, v13, v80 neg_lo:[1,1,0]
	v_dot4_i32_iu8 v79, v2, v14, v79 neg_lo:[1,1,0]
	v_dot4_i32_iu8 v27, v2, v15, v27 neg_lo:[1,1,0]
	v_dot4_i32_iu8 v77, v3, v12, v77 neg_lo:[1,1,0]
	v_dot4_i32_iu8 v72, v3, v13, v72 neg_lo:[1,1,0]
	;; [unrolled: 18-line block ×3, first 2 shown]
	v_dot4_i32_iu8 v39, v7, v10, v39 neg_lo:[1,1,0]
	v_dot4_i32_iu8 v24, v7, v11, v24 neg_lo:[1,1,0]
	v_dot4_i32_iu8 v40, v4, v12, v40 neg_lo:[1,1,0]
	v_dot4_i32_iu8 v44, v4, v13, v44 neg_lo:[1,1,0]
	v_dot4_i32_iu8 v45, v4, v14, v45 neg_lo:[1,1,0]
	v_dot4_i32_iu8 v46, v4, v15, v46 neg_lo:[1,1,0]
	v_dot4_i32_iu8 v47, v5, v12, v47 neg_lo:[1,1,0]
	v_dot4_i32_iu8 v51, v5, v13, v51 neg_lo:[1,1,0]
	v_dot4_i32_iu8 v50, v5, v14, v50 neg_lo:[1,1,0]
	v_dot4_i32_iu8 v41, v5, v15, v41 neg_lo:[1,1,0]
	v_dot4_i32_iu8 v84, v6, v12, v84 neg_lo:[1,1,0]
	v_dot4_i32_iu8 v85, v6, v13, v85 neg_lo:[1,1,0]
	v_dot4_i32_iu8 v86, v6, v14, v86 neg_lo:[1,1,0]
	v_dot4_i32_iu8 v87, v6, v15, v87 neg_lo:[1,1,0]
	v_dot4_i32_iu8 v29, v7, v12, v29 neg_lo:[1,1,0]
	v_dot4_i32_iu8 v30, v7, v13, v30 neg_lo:[1,1,0]
	ds_load_b128 v[8:11], v21 offset:28416
	v_dot4_i32_iu8 v31, v7, v14, v31 neg_lo:[1,1,0]
	v_dot4_i32_iu8 v32, v7, v15, v32 neg_lo:[1,1,0]
	ds_load_b128 v[4:7], v20 offset:12032
	s_wait_dscnt 0x2
	v_dot4_i32_iu8 v33, v0, v16, v33 neg_lo:[1,1,0]
	v_dot4_i32_iu8 v34, v0, v17, v34 neg_lo:[1,1,0]
	v_dot4_i32_iu8 v35, v0, v18, v35 neg_lo:[1,1,0]
	v_dot4_i32_iu8 v36, v0, v19, v36 neg_lo:[1,1,0]
	v_dot4_i32_iu8 v42, v1, v16, v42 neg_lo:[1,1,0]
	v_dot4_i32_iu8 v43, v1, v17, v43 neg_lo:[1,1,0]
	v_dot4_i32_iu8 v49, v1, v18, v49 neg_lo:[1,1,0]
	v_dot4_i32_iu8 v52, v1, v19, v52 neg_lo:[1,1,0]
	v_dot4_i32_iu8 v53, v2, v16, v53 neg_lo:[1,1,0]
	v_dot4_i32_iu8 v48, v2, v17, v48 neg_lo:[1,1,0]
	v_dot4_i32_iu8 v56, v2, v18, v56 neg_lo:[1,1,0]
	v_dot4_i32_iu8 v58, v2, v19, v58 neg_lo:[1,1,0]
	v_dot4_i32_iu8 v60, v3, v16, v60 neg_lo:[1,1,0]
	v_dot4_i32_iu8 v61, v3, v17, v61 neg_lo:[1,1,0]
	v_dot4_i32_iu8 v70, v3, v18, v70 neg_lo:[1,1,0]
	v_dot4_i32_iu8 v73, v3, v19, v73 neg_lo:[1,1,0]
	ds_load_b128 v[12:15], v21 offset:28672
	s_wait_dscnt 0x2
	v_dot4_i32_iu8 v74, v0, v8, v74 neg_lo:[1,1,0]
	v_dot4_i32_iu8 v75, v0, v9, v75 neg_lo:[1,1,0]
	v_dot4_i32_iu8 v76, v0, v10, v76 neg_lo:[1,1,0]
	v_dot4_i32_iu8 v25, v0, v11, v25 neg_lo:[1,1,0]
	v_dot4_i32_iu8 v78, v1, v8, v78 neg_lo:[1,1,0]
	v_dot4_i32_iu8 v81, v1, v9, v81 neg_lo:[1,1,0]
	v_dot4_i32_iu8 v82, v1, v10, v82 neg_lo:[1,1,0]
	v_dot4_i32_iu8 v26, v1, v11, v26 neg_lo:[1,1,0]
	v_dot4_i32_iu8 v83, v2, v8, v83 neg_lo:[1,1,0]
	v_dot4_i32_iu8 v80, v2, v9, v80 neg_lo:[1,1,0]
	v_dot4_i32_iu8 v79, v2, v10, v79 neg_lo:[1,1,0]
	v_dot4_i32_iu8 v27, v2, v11, v27 neg_lo:[1,1,0]
	v_dot4_i32_iu8 v77, v3, v8, v77 neg_lo:[1,1,0]
	v_dot4_i32_iu8 v72, v3, v9, v72 neg_lo:[1,1,0]
	;; [unrolled: 18-line block ×3, first 2 shown]
	v_dot4_i32_iu8 v39, v7, v18, v39 neg_lo:[1,1,0]
	v_dot4_i32_iu8 v24, v7, v19, v24 neg_lo:[1,1,0]
	v_dot4_i32_iu8 v40, v4, v8, v40 neg_lo:[1,1,0]
	v_dot4_i32_iu8 v44, v4, v9, v44 neg_lo:[1,1,0]
	v_dot4_i32_iu8 v45, v4, v10, v45 neg_lo:[1,1,0]
	v_dot4_i32_iu8 v46, v4, v11, v46 neg_lo:[1,1,0]
	v_dot4_i32_iu8 v47, v5, v8, v47 neg_lo:[1,1,0]
	v_dot4_i32_iu8 v51, v5, v9, v51 neg_lo:[1,1,0]
	v_dot4_i32_iu8 v50, v5, v10, v50 neg_lo:[1,1,0]
	v_dot4_i32_iu8 v41, v5, v11, v41 neg_lo:[1,1,0]
	v_dot4_i32_iu8 v84, v6, v8, v84 neg_lo:[1,1,0]
	v_dot4_i32_iu8 v85, v6, v9, v85 neg_lo:[1,1,0]
	v_dot4_i32_iu8 v86, v6, v10, v86 neg_lo:[1,1,0]
	v_dot4_i32_iu8 v87, v6, v11, v87 neg_lo:[1,1,0]
	v_dot4_i32_iu8 v29, v7, v8, v29 neg_lo:[1,1,0]
	v_dot4_i32_iu8 v30, v7, v9, v30 neg_lo:[1,1,0]
	ds_load_b128 v[16:19], v21 offset:28928
	v_dot4_i32_iu8 v31, v7, v10, v31 neg_lo:[1,1,0]
	v_dot4_i32_iu8 v32, v7, v11, v32 neg_lo:[1,1,0]
	ds_load_b128 v[4:7], v20 offset:12544
	s_wait_dscnt 0x2
	v_dot4_i32_iu8 v33, v0, v12, v33 neg_lo:[1,1,0]
	v_dot4_i32_iu8 v34, v0, v13, v34 neg_lo:[1,1,0]
	v_dot4_i32_iu8 v35, v0, v14, v35 neg_lo:[1,1,0]
	v_dot4_i32_iu8 v36, v0, v15, v36 neg_lo:[1,1,0]
	v_dot4_i32_iu8 v42, v1, v12, v42 neg_lo:[1,1,0]
	v_dot4_i32_iu8 v43, v1, v13, v43 neg_lo:[1,1,0]
	v_dot4_i32_iu8 v49, v1, v14, v49 neg_lo:[1,1,0]
	v_dot4_i32_iu8 v52, v1, v15, v52 neg_lo:[1,1,0]
	v_dot4_i32_iu8 v53, v2, v12, v53 neg_lo:[1,1,0]
	v_dot4_i32_iu8 v48, v2, v13, v48 neg_lo:[1,1,0]
	v_dot4_i32_iu8 v56, v2, v14, v56 neg_lo:[1,1,0]
	v_dot4_i32_iu8 v58, v2, v15, v58 neg_lo:[1,1,0]
	v_dot4_i32_iu8 v60, v3, v12, v60 neg_lo:[1,1,0]
	v_dot4_i32_iu8 v61, v3, v13, v61 neg_lo:[1,1,0]
	v_dot4_i32_iu8 v70, v3, v14, v70 neg_lo:[1,1,0]
	v_dot4_i32_iu8 v73, v3, v15, v73 neg_lo:[1,1,0]
	ds_load_b128 v[8:11], v21 offset:29184
	s_wait_dscnt 0x2
	v_dot4_i32_iu8 v74, v0, v16, v74 neg_lo:[1,1,0]
	v_dot4_i32_iu8 v75, v0, v17, v75 neg_lo:[1,1,0]
	v_dot4_i32_iu8 v76, v0, v18, v76 neg_lo:[1,1,0]
	v_dot4_i32_iu8 v25, v0, v19, v25 neg_lo:[1,1,0]
	v_dot4_i32_iu8 v78, v1, v16, v78 neg_lo:[1,1,0]
	v_dot4_i32_iu8 v81, v1, v17, v81 neg_lo:[1,1,0]
	v_dot4_i32_iu8 v82, v1, v18, v82 neg_lo:[1,1,0]
	v_dot4_i32_iu8 v26, v1, v19, v26 neg_lo:[1,1,0]
	v_dot4_i32_iu8 v83, v2, v16, v83 neg_lo:[1,1,0]
	v_dot4_i32_iu8 v80, v2, v17, v80 neg_lo:[1,1,0]
	v_dot4_i32_iu8 v79, v2, v18, v79 neg_lo:[1,1,0]
	v_dot4_i32_iu8 v27, v2, v19, v27 neg_lo:[1,1,0]
	v_dot4_i32_iu8 v77, v3, v16, v77 neg_lo:[1,1,0]
	v_dot4_i32_iu8 v72, v3, v17, v72 neg_lo:[1,1,0]
	;; [unrolled: 18-line block ×3, first 2 shown]
	v_dot4_i32_iu8 v39, v7, v14, v39 neg_lo:[1,1,0]
	v_dot4_i32_iu8 v24, v7, v15, v24 neg_lo:[1,1,0]
	;; [unrolled: 1-line block ×16, first 2 shown]
	ds_load_b128 v[12:15], v21 offset:29440
	v_dot4_i32_iu8 v31, v7, v18, v31 neg_lo:[1,1,0]
	v_dot4_i32_iu8 v32, v7, v19, v32 neg_lo:[1,1,0]
	ds_load_b128 v[4:7], v20 offset:13056
	s_wait_dscnt 0x2
	v_dot4_i32_iu8 v33, v0, v8, v33 neg_lo:[1,1,0]
	v_dot4_i32_iu8 v34, v0, v9, v34 neg_lo:[1,1,0]
	v_dot4_i32_iu8 v35, v0, v10, v35 neg_lo:[1,1,0]
	v_dot4_i32_iu8 v36, v0, v11, v36 neg_lo:[1,1,0]
	v_dot4_i32_iu8 v42, v1, v8, v42 neg_lo:[1,1,0]
	v_dot4_i32_iu8 v43, v1, v9, v43 neg_lo:[1,1,0]
	v_dot4_i32_iu8 v49, v1, v10, v49 neg_lo:[1,1,0]
	v_dot4_i32_iu8 v52, v1, v11, v52 neg_lo:[1,1,0]
	v_dot4_i32_iu8 v53, v2, v8, v53 neg_lo:[1,1,0]
	v_dot4_i32_iu8 v48, v2, v9, v48 neg_lo:[1,1,0]
	v_dot4_i32_iu8 v56, v2, v10, v56 neg_lo:[1,1,0]
	v_dot4_i32_iu8 v58, v2, v11, v58 neg_lo:[1,1,0]
	v_dot4_i32_iu8 v60, v3, v8, v60 neg_lo:[1,1,0]
	v_dot4_i32_iu8 v61, v3, v9, v61 neg_lo:[1,1,0]
	v_dot4_i32_iu8 v70, v3, v10, v70 neg_lo:[1,1,0]
	v_dot4_i32_iu8 v73, v3, v11, v73 neg_lo:[1,1,0]
	ds_load_b128 v[16:19], v21 offset:29696
	s_wait_dscnt 0x2
	v_dot4_i32_iu8 v74, v0, v12, v74 neg_lo:[1,1,0]
	v_dot4_i32_iu8 v75, v0, v13, v75 neg_lo:[1,1,0]
	v_dot4_i32_iu8 v76, v0, v14, v76 neg_lo:[1,1,0]
	v_dot4_i32_iu8 v25, v0, v15, v25 neg_lo:[1,1,0]
	v_dot4_i32_iu8 v78, v1, v12, v78 neg_lo:[1,1,0]
	v_dot4_i32_iu8 v81, v1, v13, v81 neg_lo:[1,1,0]
	v_dot4_i32_iu8 v82, v1, v14, v82 neg_lo:[1,1,0]
	v_dot4_i32_iu8 v26, v1, v15, v26 neg_lo:[1,1,0]
	v_dot4_i32_iu8 v83, v2, v12, v83 neg_lo:[1,1,0]
	v_dot4_i32_iu8 v80, v2, v13, v80 neg_lo:[1,1,0]
	v_dot4_i32_iu8 v79, v2, v14, v79 neg_lo:[1,1,0]
	v_dot4_i32_iu8 v27, v2, v15, v27 neg_lo:[1,1,0]
	v_dot4_i32_iu8 v77, v3, v12, v77 neg_lo:[1,1,0]
	v_dot4_i32_iu8 v72, v3, v13, v72 neg_lo:[1,1,0]
	;; [unrolled: 18-line block ×3, first 2 shown]
	v_dot4_i32_iu8 v39, v7, v10, v39 neg_lo:[1,1,0]
	v_dot4_i32_iu8 v24, v7, v11, v24 neg_lo:[1,1,0]
	;; [unrolled: 1-line block ×16, first 2 shown]
	ds_load_b128 v[8:11], v21 offset:29952
	v_dot4_i32_iu8 v31, v7, v14, v31 neg_lo:[1,1,0]
	v_dot4_i32_iu8 v32, v7, v15, v32 neg_lo:[1,1,0]
	ds_load_b128 v[4:7], v20 offset:13568
	s_wait_dscnt 0x2
	v_dot4_i32_iu8 v33, v0, v16, v33 neg_lo:[1,1,0]
	v_dot4_i32_iu8 v34, v0, v17, v34 neg_lo:[1,1,0]
	v_dot4_i32_iu8 v35, v0, v18, v35 neg_lo:[1,1,0]
	v_dot4_i32_iu8 v36, v0, v19, v36 neg_lo:[1,1,0]
	v_dot4_i32_iu8 v42, v1, v16, v42 neg_lo:[1,1,0]
	v_dot4_i32_iu8 v43, v1, v17, v43 neg_lo:[1,1,0]
	v_dot4_i32_iu8 v49, v1, v18, v49 neg_lo:[1,1,0]
	v_dot4_i32_iu8 v52, v1, v19, v52 neg_lo:[1,1,0]
	v_dot4_i32_iu8 v53, v2, v16, v53 neg_lo:[1,1,0]
	v_dot4_i32_iu8 v48, v2, v17, v48 neg_lo:[1,1,0]
	v_dot4_i32_iu8 v56, v2, v18, v56 neg_lo:[1,1,0]
	v_dot4_i32_iu8 v58, v2, v19, v58 neg_lo:[1,1,0]
	v_dot4_i32_iu8 v60, v3, v16, v60 neg_lo:[1,1,0]
	v_dot4_i32_iu8 v61, v3, v17, v61 neg_lo:[1,1,0]
	v_dot4_i32_iu8 v70, v3, v18, v70 neg_lo:[1,1,0]
	v_dot4_i32_iu8 v73, v3, v19, v73 neg_lo:[1,1,0]
	ds_load_b128 v[12:15], v21 offset:30208
	s_wait_dscnt 0x2
	v_dot4_i32_iu8 v74, v0, v8, v74 neg_lo:[1,1,0]
	v_dot4_i32_iu8 v75, v0, v9, v75 neg_lo:[1,1,0]
	v_dot4_i32_iu8 v76, v0, v10, v76 neg_lo:[1,1,0]
	v_dot4_i32_iu8 v25, v0, v11, v25 neg_lo:[1,1,0]
	v_dot4_i32_iu8 v78, v1, v8, v78 neg_lo:[1,1,0]
	v_dot4_i32_iu8 v81, v1, v9, v81 neg_lo:[1,1,0]
	v_dot4_i32_iu8 v82, v1, v10, v82 neg_lo:[1,1,0]
	v_dot4_i32_iu8 v26, v1, v11, v26 neg_lo:[1,1,0]
	v_dot4_i32_iu8 v83, v2, v8, v83 neg_lo:[1,1,0]
	v_dot4_i32_iu8 v80, v2, v9, v80 neg_lo:[1,1,0]
	v_dot4_i32_iu8 v79, v2, v10, v79 neg_lo:[1,1,0]
	v_dot4_i32_iu8 v27, v2, v11, v27 neg_lo:[1,1,0]
	v_dot4_i32_iu8 v77, v3, v8, v77 neg_lo:[1,1,0]
	v_dot4_i32_iu8 v72, v3, v9, v72 neg_lo:[1,1,0]
	;; [unrolled: 18-line block ×3, first 2 shown]
	v_dot4_i32_iu8 v39, v7, v18, v39 neg_lo:[1,1,0]
	v_dot4_i32_iu8 v24, v7, v19, v24 neg_lo:[1,1,0]
	;; [unrolled: 1-line block ×16, first 2 shown]
	ds_load_b128 v[16:19], v21 offset:30464
	v_dot4_i32_iu8 v31, v7, v10, v31 neg_lo:[1,1,0]
	v_dot4_i32_iu8 v32, v7, v11, v32 neg_lo:[1,1,0]
	ds_load_b128 v[4:7], v20 offset:14080
	ds_load_b128 v[8:11], v20 offset:14336
	s_wait_dscnt 0x3
	v_dot4_i32_iu8 v33, v0, v12, v33 neg_lo:[1,1,0]
	v_dot4_i32_iu8 v34, v0, v13, v34 neg_lo:[1,1,0]
	;; [unrolled: 1-line block ×16, first 2 shown]
	s_lshl_b32 s2, s73, 7
	s_lshl_b32 s3, s35, 6
	s_wait_dscnt 0x1
	v_dot4_i32_iu8 v69, v4, v12, v69 neg_lo:[1,1,0]
	v_dot4_i32_iu8 v68, v4, v13, v68 neg_lo:[1,1,0]
	;; [unrolled: 1-line block ×16, first 2 shown]
	ds_load_b128 v[12:15], v21 offset:30720
	v_dot4_i32_iu8 v74, v0, v16, v74 neg_lo:[1,1,0]
	v_dot4_i32_iu8 v75, v0, v17, v75 neg_lo:[1,1,0]
	;; [unrolled: 1-line block ×4, first 2 shown]
	v_lshl_or_b32 v0, s47, 7, v23
	v_dot4_i32_iu8 v83, v2, v16, v83 neg_lo:[1,1,0]
	v_dot4_i32_iu8 v80, v2, v17, v80 neg_lo:[1,1,0]
	;; [unrolled: 1-line block ×4, first 2 shown]
	v_mul_lo_u32 v2, v0, s72
	v_dot4_i32_iu8 v78, v1, v16, v78 neg_lo:[1,1,0]
	v_dot4_i32_iu8 v81, v1, v17, v81 neg_lo:[1,1,0]
	;; [unrolled: 1-line block ×4, first 2 shown]
	v_lshl_add_u32 v1, s51, 7, v22
	v_dot4_i32_iu8 v40, v4, v16, v40 neg_lo:[1,1,0]
	v_dot4_i32_iu8 v44, v4, v17, v44 neg_lo:[1,1,0]
	;; [unrolled: 1-line block ×4, first 2 shown]
	v_mad_co_u64_u32 v[22:23], null, v1, s73, v[2:3]
	v_dot4_i32_iu8 v77, v3, v16, v77 neg_lo:[1,1,0]
	v_dot4_i32_iu8 v72, v3, v17, v72 neg_lo:[1,1,0]
	;; [unrolled: 1-line block ×4, first 2 shown]
	s_wait_alu 0xfffe
	s_sub_co_i32 s1, s1, s2
	v_dot4_i32_iu8 v47, v5, v16, v47 neg_lo:[1,1,0]
	buffer_load_b32 v2, v22, s[24:27], null offen
	v_add_nc_u32_e32 v4, s0, v22
	v_dot4_i32_iu8 v51, v5, v17, v51 neg_lo:[1,1,0]
	v_dot4_i32_iu8 v50, v5, v18, v50 neg_lo:[1,1,0]
	;; [unrolled: 1-line block ×4, first 2 shown]
	buffer_load_b32 v3, v4, s[24:27], null offen
	v_add_nc_u32_e32 v5, s1, v4
	v_dot4_i32_iu8 v85, v6, v17, v85 neg_lo:[1,1,0]
	v_dot4_i32_iu8 v86, v6, v18, v86 neg_lo:[1,1,0]
	;; [unrolled: 1-line block ×7, first 2 shown]
	ds_load_b128 v[16:19], v21 offset:30976
	ds_load_b128 v[22:25], v20 offset:14592
	buffer_load_b32 v4, v5, s[24:27], null offen
	v_add_nc_u32_e32 v6, s0, v5
	s_wait_dscnt 0x2
	v_dot4_i32_iu8 v32, v8, v12, v33 neg_lo:[1,1,0]
	v_dot4_i32_iu8 v33, v8, v13, v34 neg_lo:[1,1,0]
	;; [unrolled: 1-line block ×4, first 2 shown]
	buffer_load_b32 v5, v6, s[24:27], null offen
	v_dot4_i32_iu8 v36, v9, v12, v42 neg_lo:[1,1,0]
	v_dot4_i32_iu8 v42, v9, v13, v43 neg_lo:[1,1,0]
	;; [unrolled: 1-line block ×11, first 2 shown]
	s_wait_dscnt 0x1
	v_dot4_i32_iu8 v73, v8, v16, v74 neg_lo:[1,1,0]
	v_dot4_i32_iu8 v74, v8, v17, v75 neg_lo:[1,1,0]
	;; [unrolled: 1-line block ×4, first 2 shown]
	v_add_nc_u32_e32 v88, s1, v6
	s_wait_dscnt 0x0
	v_dot4_i32_iu8 v90, v25, v19, v7 neg_lo:[1,1,0]
	s_mul_i32 s2, s72, 60
	v_dot4_i32_iu8 v48, v10, v13, v48 neg_lo:[1,1,0]
	v_dot4_i32_iu8 v78, v9, v16, v78 neg_lo:[1,1,0]
	buffer_load_b32 v6, v88, s[24:27], null offen
	v_add_nc_u32_e32 v88, s0, v88
	v_dot4_i32_iu8 v81, v9, v17, v81 neg_lo:[1,1,0]
	v_dot4_i32_iu8 v82, v9, v18, v82 neg_lo:[1,1,0]
	v_dot4_i32_iu8 v26, v9, v19, v26 neg_lo:[1,1,0]
	v_dot4_i32_iu8 v83, v10, v16, v83 neg_lo:[1,1,0]
	buffer_load_b32 v7, v88, s[24:27], null offen
	v_add_nc_u32_e32 v88, s1, v88
	v_dot4_i32_iu8 v80, v10, v17, v80 neg_lo:[1,1,0]
	v_dot4_i32_iu8 v79, v10, v18, v79 neg_lo:[1,1,0]
	;; [unrolled: 6-line block ×3, first 2 shown]
	v_dot4_i32_iu8 v28, v11, v19, v28 neg_lo:[1,1,0]
	ds_load_b128 v[8:11], v20 offset:14848
	buffer_load_b32 v92, v88, s[24:27], null offen
	v_add3_u32 v88, s1, s2, v88
	v_dot4_i32_iu8 v69, v22, v12, v69 neg_lo:[1,1,0]
	v_dot4_i32_iu8 v68, v22, v13, v68 neg_lo:[1,1,0]
	;; [unrolled: 1-line block ×4, first 2 shown]
	buffer_load_b32 v93, v88, s[24:27], null offen
	v_dot4_i32_iu8 v65, v23, v12, v65 neg_lo:[1,1,0]
	v_dot4_i32_iu8 v64, v23, v13, v64 neg_lo:[1,1,0]
	;; [unrolled: 1-line block ×12, first 2 shown]
	ds_load_b128 v[12:15], v21 offset:31232
	v_dot4_i32_iu8 v40, v22, v16, v40 neg_lo:[1,1,0]
	v_dot4_i32_iu8 v44, v22, v17, v44 neg_lo:[1,1,0]
	;; [unrolled: 1-line block ×15, first 2 shown]
	ds_load_b128 v[16:19], v21 offset:31488
	ds_load_b128 v[22:25], v20 offset:15104
	v_add_nc_u32_e32 v88, s0, v88
	v_cmp_gt_i32_e32 vcc_lo, s33, v1
	s_wait_dscnt 0x2
	v_dot4_i32_iu8 v32, v8, v12, v32 neg_lo:[1,1,0]
	v_dot4_i32_iu8 v33, v8, v13, v33 neg_lo:[1,1,0]
	;; [unrolled: 1-line block ×16, first 2 shown]
	s_wait_dscnt 0x1
	v_dot4_i32_iu8 v73, v8, v16, v73 neg_lo:[1,1,0]
	v_dot4_i32_iu8 v74, v8, v17, v74 neg_lo:[1,1,0]
	;; [unrolled: 1-line block ×16, first 2 shown]
	ds_load_b128 v[8:11], v20 offset:15360
	s_wait_dscnt 0x1
	v_dot4_i32_iu8 v69, v22, v12, v69 neg_lo:[1,1,0]
	v_dot4_i32_iu8 v68, v22, v13, v68 neg_lo:[1,1,0]
	;; [unrolled: 1-line block ×16, first 2 shown]
	ds_load_b128 v[12:15], v21 offset:31744
	v_dot4_i32_iu8 v40, v22, v16, v40 neg_lo:[1,1,0]
	v_dot4_i32_iu8 v44, v22, v17, v44 neg_lo:[1,1,0]
	;; [unrolled: 1-line block ×16, first 2 shown]
	ds_load_b128 v[16:19], v21 offset:32000
	ds_load_b128 v[22:25], v20 offset:15616
	buffer_load_b32 v94, v88, s[24:27], null offen
	v_add_nc_u32_e32 v88, s1, v88
	s_wait_dscnt 0x2
	v_dot4_i32_iu8 v32, v8, v12, v32 neg_lo:[1,1,0]
	v_dot4_i32_iu8 v33, v8, v13, v33 neg_lo:[1,1,0]
	;; [unrolled: 1-line block ×4, first 2 shown]
	buffer_load_b32 v95, v88, s[24:27], null offen
	v_add_nc_u32_e32 v88, s0, v88
	v_dot4_i32_iu8 v36, v9, v12, v36 neg_lo:[1,1,0]
	v_dot4_i32_iu8 v42, v9, v13, v42 neg_lo:[1,1,0]
	;; [unrolled: 1-line block ×4, first 2 shown]
	buffer_load_b32 v96, v88, s[24:27], null offen
	v_add_nc_u32_e32 v88, s1, v88
	v_dot4_i32_iu8 v52, v10, v12, v52 neg_lo:[1,1,0]
	v_dot4_i32_iu8 v48, v10, v13, v48 neg_lo:[1,1,0]
	;; [unrolled: 1-line block ×4, first 2 shown]
	buffer_load_b32 v97, v88, s[24:27], null offen
	v_dot4_i32_iu8 v58, v11, v12, v58 neg_lo:[1,1,0]
	v_dot4_i32_iu8 v60, v11, v13, v60 neg_lo:[1,1,0]
	;; [unrolled: 1-line block ×4, first 2 shown]
	s_wait_dscnt 0x1
	v_dot4_i32_iu8 v73, v8, v16, v73 neg_lo:[1,1,0]
	v_dot4_i32_iu8 v74, v8, v17, v74 neg_lo:[1,1,0]
	;; [unrolled: 1-line block ×16, first 2 shown]
	ds_load_b128 v[8:11], v20 offset:15872
	s_wait_dscnt 0x1
	v_dot4_i32_iu8 v69, v22, v12, v69 neg_lo:[1,1,0]
	v_dot4_i32_iu8 v68, v22, v13, v68 neg_lo:[1,1,0]
	;; [unrolled: 1-line block ×16, first 2 shown]
	ds_load_b128 v[12:15], v21 offset:32256
	v_dot4_i32_iu8 v40, v22, v16, v40 neg_lo:[1,1,0]
	v_dot4_i32_iu8 v44, v22, v17, v44 neg_lo:[1,1,0]
	;; [unrolled: 1-line block ×16, first 2 shown]
	ds_load_b128 v[16:19], v21 offset:32512
	ds_load_b128 v[20:23], v20 offset:16128
	v_add_nc_u32_e32 v87, s0, v88
	s_wait_dscnt 0x2
	v_dot4_i32_iu8 v32, v8, v12, v32 neg_lo:[1,1,0]
	v_dot4_i32_iu8 v33, v8, v13, v33 neg_lo:[1,1,0]
	;; [unrolled: 1-line block ×3, first 2 shown]
	buffer_load_b32 v88, v87, s[24:27], null offen
	v_dot4_i32_iu8 v35, v8, v15, v35 neg_lo:[1,1,0]
	v_dot4_i32_iu8 v36, v9, v12, v36 neg_lo:[1,1,0]
	v_dot4_i32_iu8 v42, v9, v13, v42 neg_lo:[1,1,0]
	v_dot4_i32_iu8 v43, v9, v14, v43 neg_lo:[1,1,0]
	v_dot4_i32_iu8 v49, v9, v15, v49 neg_lo:[1,1,0]
	v_dot4_i32_iu8 v52, v10, v12, v52 neg_lo:[1,1,0]
	v_dot4_i32_iu8 v48, v10, v13, v48 neg_lo:[1,1,0]
	v_dot4_i32_iu8 v53, v10, v14, v53 neg_lo:[1,1,0]
	v_dot4_i32_iu8 v56, v10, v15, v56 neg_lo:[1,1,0]
	v_dot4_i32_iu8 v58, v11, v12, v58 neg_lo:[1,1,0]
	v_dot4_i32_iu8 v60, v11, v13, v60 neg_lo:[1,1,0]
	v_dot4_i32_iu8 v61, v11, v14, v61 neg_lo:[1,1,0]
	s_wait_dscnt 0x1
	v_dot4_i32_iu8 v73, v8, v16, v73 neg_lo:[1,1,0]
	v_dot4_i32_iu8 v74, v8, v17, v74 neg_lo:[1,1,0]
	;; [unrolled: 1-line block ×5, first 2 shown]
	v_add_nc_u32_e32 v78, s1, v87
	v_dot4_i32_iu8 v81, v9, v17, v81 neg_lo:[1,1,0]
	v_dot4_i32_iu8 v82, v9, v18, v82 neg_lo:[1,1,0]
	;; [unrolled: 1-line block ×4, first 2 shown]
	buffer_load_b32 v83, v78, s[24:27], null offen
	v_dot4_i32_iu8 v70, v11, v15, v70 neg_lo:[1,1,0]
	v_dot4_i32_iu8 v80, v10, v17, v80 neg_lo:[1,1,0]
	;; [unrolled: 1-line block ×8, first 2 shown]
	s_wait_dscnt 0x0
	v_dot4_i32_iu8 v28, v20, v12, v69 neg_lo:[1,1,0]
	v_add_nc_u32_e32 v69, s0, v78
	v_cmp_gt_i32_e64 s1, s23, v0
	v_dot4_i32_iu8 v68, v20, v13, v68 neg_lo:[1,1,0]
	v_dot4_i32_iu8 v67, v20, v14, v67 neg_lo:[1,1,0]
	;; [unrolled: 1-line block ×3, first 2 shown]
	buffer_load_b32 v69, v69, s[24:27], null offen
	v_dot4_i32_iu8 v65, v21, v12, v65 neg_lo:[1,1,0]
	v_dot4_i32_iu8 v64, v21, v13, v64 neg_lo:[1,1,0]
	;; [unrolled: 1-line block ×14, first 2 shown]
	s_and_b32 s0, s1, vcc_lo
	v_dot4_i32_iu8 v46, v22, v17, v85 neg_lo:[1,1,0]
	v_dot4_i32_iu8 v17, v23, v17, v30 neg_lo:[1,1,0]
	v_add_nc_u32_e32 v30, 64, v1
	v_dot4_i32_iu8 v62, v21, v15, v62 neg_lo:[1,1,0]
	v_dot4_i32_iu8 v54, v22, v15, v54 neg_lo:[1,1,0]
	;; [unrolled: 1-line block ×10, first 2 shown]
	v_or_b32_e32 v31, 1, v0
	v_dot4_i32_iu8 v16, v23, v16, v29 neg_lo:[1,1,0]
	v_dot4_i32_iu8 v15, v23, v15, v89 neg_lo:[1,1,0]
	v_add_nc_u32_e32 v77, 0x43, v0
	s_wait_loadcnt 0xf
	s_wait_alu 0xfffe
	v_cndmask_b32_e64 v2, 0, v2, s0
	v_cmp_gt_i32_e64 s0, s33, v30
	s_delay_alu instid0(VALU_DEP_2)
	v_lshrrev_b32_e32 v50, 8, v2
	v_add_nc_u16 v24, v2, v32
	v_lshrrev_b32_e32 v25, 16, v2
	v_lshrrev_b32_e32 v2, 24, v2
	s_and_b32 s1, s1, s0
	v_add_nc_u16 v29, v50, v33
	s_wait_loadcnt 0xe
	s_wait_alu 0xfffe
	v_cndmask_b32_e64 v3, 0, v3, s1
	v_cmp_gt_i32_e64 s1, s23, v31
	v_add_nc_u16 v2, v2, v35
	v_bfe_i32 v23, v24, 0, 8
	v_bfe_i32 v24, v29, 0, 8
	v_lshrrev_b32_e32 v32, 8, v3
	v_add_nc_u16 v29, v3, v73
	v_bfe_i32 v2, v2, 0, 8
	s_and_b32 s2, s1, vcc_lo
	v_add_nc_u16 v25, v25, v34
	s_wait_loadcnt 0xd
	s_wait_alu 0xfffe
	v_cndmask_b32_e64 v4, 0, v4, s2
	s_and_b32 s1, s1, s0
	v_max_i16 v33, v2, 0
	v_add_nc_u16 v2, v32, v74
	v_lshrrev_b32_e32 v32, 16, v3
	v_lshrrev_b32_e32 v3, 24, v3
	;; [unrolled: 1-line block ×3, first 2 shown]
	s_wait_loadcnt 0xc
	s_wait_alu 0xfffe
	v_cndmask_b32_e64 v5, 0, v5, s1
	v_bfe_i32 v2, v2, 0, 8
	v_add_nc_u16 v32, v32, v75
	v_add_nc_u16 v3, v3, v8
	;; [unrolled: 1-line block ×3, first 2 shown]
	v_or_b32_e32 v42, 2, v0
	v_max_i16 v2, v2, 0
	v_bfe_i32 v8, v32, 0, 8
	v_add_nc_u16 v32, v4, v36
	v_max_i16 v23, v23, 0
	v_cmp_gt_i32_e64 s1, s23, v42
	v_and_b32_e32 v35, 0xffff, v2
	v_bfe_i32 v2, v3, 0, 8
	v_max_i16 v3, v8, 0
	v_bfe_i32 v8, v32, 0, 8
	v_bfe_i32 v32, v34, 0, 8
	v_lshrrev_b32_e32 v34, 16, v4
	v_max_i16 v36, v2, 0
	v_lshrrev_b32_e32 v2, 24, v4
	v_max_i16 v4, v8, 0
	v_max_i16 v8, v32, 0
	v_add_nc_u16 v32, v34, v43
	v_lshrrev_b32_e32 v43, 8, v5
	v_add_nc_u16 v2, v2, v49
	s_and_b32 s2, s1, vcc_lo
	v_add_nc_u16 v34, v5, v76
	s_wait_loadcnt 0xb
	s_wait_alu 0xfffe
	v_cndmask_b32_e64 v6, 0, v6, s2
	s_and_b32 s1, s1, s0
	v_bfe_i32 v2, v2, 0, 8
	s_wait_loadcnt 0xa
	s_wait_alu 0xfffe
	v_cndmask_b32_e64 v7, 0, v7, s1
	v_max_i16 v24, v24, 0
	v_lshrrev_b32_e32 v50, 8, v6
	v_bfe_i32 v25, v25, 0, 8
	v_max_i16 v49, v2, 0
	v_add_nc_u16 v2, v43, v81
	v_lshrrev_b32_e32 v43, 16, v5
	v_lshrrev_b32_e32 v5, 24, v5
	v_add_nc_u16 v48, v50, v48
	v_add_nc_u16 v26, v7, v26
	v_bfe_i32 v2, v2, 0, 8
	v_add_nc_u16 v43, v43, v82
	v_add_nc_u16 v5, v5, v9
	v_bfe_i32 v29, v29, 0, 8
	v_and_b32_e32 v23, 0xffff, v23
	v_max_i16 v2, v2, 0
	v_bfe_i32 v9, v43, 0, 8
	v_add_nc_u16 v43, v6, v52
	v_lshrrev_b32_e32 v52, 8, v7
	v_and_b32_e32 v24, 0xffff, v24
	v_and_b32_e32 v50, 0xffff, v2
	v_bfe_i32 v2, v5, 0, 8
	v_max_i16 v5, v9, 0
	v_bfe_i32 v9, v43, 0, 8
	v_bfe_i32 v43, v48, 0, 8
	v_lshrrev_b32_e32 v48, 16, v6
	v_max_i16 v51, v2, 0
	v_lshrrev_b32_e32 v2, 24, v6
	v_max_i16 v6, v9, 0
	v_max_i16 v9, v43, 0
	v_add_nc_u16 v43, v48, v53
	v_or_b32_e32 v48, 3, v0
	v_add_nc_u16 v2, v2, v56
	v_max_i16 v25, v25, 0
	v_max_i16 v29, v29, 0
	v_bfe_i32 v34, v34, 0, 8
	v_cmp_gt_i32_e64 s1, s23, v48
	v_bfe_i32 v2, v2, 0, 8
	v_bfe_i32 v32, v32, 0, 8
	v_and_b32_e32 v29, 0xffff, v29
	v_max_i16 v34, v34, 0
	s_and_b32 s2, s1, vcc_lo
	v_max_i16 v53, v2, 0
	v_add_nc_u16 v2, v52, v80
	v_lshrrev_b32_e32 v52, 16, v7
	s_wait_loadcnt 0x9
	s_wait_alu 0xfffe
	v_cndmask_b32_e64 v56, 0, v91, s2
	v_lshrrev_b32_e32 v7, 24, v7
	s_and_b32 s1, s1, s0
	v_bfe_i32 v2, v2, 0, 8
	v_add_nc_u16 v52, v52, v79
	v_lshrrev_b32_e32 v73, 8, v56
	v_add_nc_u16 v7, v7, v10
	v_and_b32_e32 v34, 0xffff, v34
	v_max_i16 v2, v2, 0
	v_bfe_i32 v10, v52, 0, 8
	v_add_nc_u16 v52, v56, v58
	v_add_nc_u16 v58, v73, v60
	v_bfe_i32 v43, v43, 0, 8
	v_and_b32_e32 v60, 0xffff, v2
	v_bfe_i32 v2, v7, 0, 8
	v_max_i16 v7, v10, 0
	v_bfe_i32 v10, v52, 0, 8
	v_bfe_i32 v52, v58, 0, 8
	v_lshrrev_b32_e32 v58, 16, v56
	v_max_i16 v73, v2, 0
	v_lshrrev_b32_e32 v2, 24, v56
	v_bfe_i32 v26, v26, 0, 8
	v_and_b32_e32 v4, 0xffff, v4
	v_add_nc_u16 v56, v58, v61
	s_wait_loadcnt 0x8
	s_wait_alu 0xfffe
	v_cndmask_b32_e64 v58, 0, v92, s1
	v_add_nc_u16 v2, v2, v70
	v_or_b32_e32 v61, 64, v0
	v_and_b32_e32 v8, 0xffff, v8
	v_max_i16 v32, v32, 0
	v_lshrrev_b32_e32 v70, 8, v58
	v_bfe_i32 v2, v2, 0, 8
	v_cmp_gt_i32_e64 s1, s23, v61
	v_add_nc_u16 v27, v58, v27
	v_and_b32_e32 v6, 0xffff, v6
	v_and_b32_e32 v9, 0xffff, v9
	v_max_i16 v74, v2, 0
	v_add_nc_u16 v2, v70, v72
	s_and_b32 s2, s1, vcc_lo
	v_lshrrev_b32_e32 v70, 16, v58
	s_wait_loadcnt 0x7
	s_wait_alu 0xfffe
	v_cndmask_b32_e64 v72, 0, v93, s2
	v_lshrrev_b32_e32 v58, 24, v58
	v_bfe_i32 v2, v2, 0, 8
	s_and_b32 s1, s1, s0
	v_add_nc_u16 v70, v70, v71
	v_lshrrev_b32_e32 v71, 8, v72
	v_add_nc_u16 v11, v58, v11
	v_max_i16 v2, v2, 0
	v_add_nc_u16 v28, v72, v28
	v_bfe_i32 v58, v70, 0, 8
	v_add_nc_u16 v68, v71, v68
	v_max_i16 v43, v43, 0
	v_and_b32_e32 v70, 0xffff, v2
	v_bfe_i32 v2, v11, 0, 8
	v_max_i16 v11, v58, 0
	v_bfe_i32 v58, v68, 0, 8
	v_lshrrev_b32_e32 v68, 16, v72
	v_lshlrev_b32_e32 v5, 16, v5
	v_max_i16 v71, v2, 0
	v_lshrrev_b32_e32 v2, 24, v72
	v_max_i16 v26, v26, 0
	v_add_nc_u16 v67, v68, v67
	v_bfe_i32 v27, v27, 0, 8
	v_lshl_or_b32 v4, v8, 8, v4
	v_add_nc_u16 v2, v2, v66
	v_lshlrev_b32_e32 v8, 16, v32
	s_wait_loadcnt 0x6
	s_wait_alu 0xfffe
	v_cndmask_b32_e64 v68, 0, v94, s1
	v_bfe_i32 v66, v67, 0, 8
	v_add_nc_u32_e32 v67, 0x41, v0
	v_bfe_i32 v2, v2, 0, 8
	v_lshl_or_b32 v6, v9, 8, v6
	v_lshrrev_b32_e32 v72, 8, v68
	v_add_nc_u16 v37, v68, v37
	v_cmp_gt_i32_e64 s1, s23, v67
	v_max_i16 v75, v2, 0
	v_lshlrev_b32_e32 v9, 16, v43
	v_add_nc_u16 v2, v72, v38
	v_lshrrev_b32_e32 v38, 16, v68
	s_and_b32 s2, s1, vcc_lo
	v_lshrrev_b32_e32 v68, 24, v68
	s_wait_loadcnt 0x5
	s_wait_alu 0xfffe
	v_cndmask_b32_e64 v72, 0, v95, s2
	v_bfe_i32 v2, v2, 0, 8
	v_add_nc_u16 v38, v38, v39
	s_and_b32 s1, s1, s0
	v_add_nc_u16 v20, v68, v20
	v_lshrrev_b32_e32 v39, 8, v72
	v_max_i16 v2, v2, 0
	v_bfe_i32 v38, v38, 0, 8
	v_add_nc_u16 v65, v72, v65
	v_and_b32_e32 v26, 0xffff, v26
	v_add_nc_u16 v39, v39, v64
	v_and_b32_e32 v64, 0xffff, v2
	v_bfe_i32 v2, v20, 0, 8
	v_max_i16 v20, v38, 0
	v_bfe_i32 v38, v65, 0, 8
	v_lshrrev_b32_e32 v65, 16, v72
	v_max_i16 v27, v27, 0
	v_max_i16 v68, v2, 0
	v_lshrrev_b32_e32 v2, 24, v72
	v_max_i16 v10, v10, 0
	v_add_nc_u16 v63, v65, v63
	s_wait_loadcnt 0x4
	s_wait_alu 0xfffe
	v_cndmask_b32_e64 v65, 0, v96, s1
	v_max_i16 v52, v52, 0
	v_add_nc_u16 v2, v2, v62
	v_bfe_i32 v56, v56, 0, 8
	v_bfe_i32 v62, v63, 0, 8
	v_add_nc_u32_e32 v63, 0x42, v0
	v_lshrrev_b32_e32 v72, 8, v65
	v_bfe_i32 v2, v2, 0, 8
	v_add_nc_u16 v40, v65, v40
	v_and_b32_e32 v27, 0xffff, v27
	v_cmp_gt_i32_e64 s1, s23, v63
	v_lshlrev_b32_e32 v7, 16, v7
	v_max_i16 v76, v2, 0
	v_add_nc_u16 v2, v72, v44
	v_lshrrev_b32_e32 v44, 16, v65
	s_and_b32 s2, s1, vcc_lo
	s_and_b32 s1, s1, s0
	s_wait_loadcnt 0x3
	s_wait_alu 0xfffe
	v_cndmask_b32_e64 v72, 0, v97, s2
	v_bfe_i32 v2, v2, 0, 8
	v_add_nc_u16 v44, v44, v45
	v_lshrrev_b32_e32 v45, 24, v65
	v_and_b32_e32 v10, 0xffff, v10
	v_lshrrev_b32_e32 v65, 8, v72
	v_max_i16 v2, v2, 0
	v_and_b32_e32 v52, 0xffff, v52
	v_add_nc_u16 v21, v45, v21
	v_add_nc_u16 v45, v72, v59
	;; [unrolled: 1-line block ×3, first 2 shown]
	v_and_b32_e32 v59, 0xffff, v2
	v_lshrrev_b32_e32 v65, 24, v72
	v_bfe_i32 v2, v21, 0, 8
	v_bfe_i32 v21, v45, 0, 8
	;; [unrolled: 1-line block ×3, first 2 shown]
	v_lshrrev_b32_e32 v57, 16, v72
	v_add_nc_u16 v54, v65, v54
	v_max_i16 v72, v2, 0
	v_max_i16 v2, v21, 0
	;; [unrolled: 1-line block ×3, first 2 shown]
	v_add_nc_u16 v45, v57, v55
	v_max_i16 v56, v56, 0
	v_lshl_or_b32 v10, v52, 8, v10
	v_and_b32_e32 v57, 0xffff, v2
	v_bfe_i32 v39, v39, 0, 8
	v_bfe_i32 v2, v45, 0, 8
	s_wait_loadcnt 0x2
	v_cndmask_b32_e64 v55, 0, v88, s1
	v_bfe_i32 v45, v54, 0, 8
	v_cmp_gt_i32_e64 s1, s23, v77
	s_mov_b32 s23, s27
	v_max_i16 v65, v2, 0
	v_add_nc_u16 v41, v55, v41
	v_lshrrev_b32_e32 v54, 8, v55
	s_and_b32 vcc_lo, s1, vcc_lo
	v_max_i16 v38, v38, 0
	v_max_i16 v39, v39, 0
	v_bfe_i32 v2, v41, 0, 8
	v_add_nc_u16 v41, v54, v46
	v_lshrrev_b32_e32 v46, 16, v55
	v_lshrrev_b32_e32 v54, 24, v55
	v_and_b32_e32 v38, 0xffff, v38
	v_max_i16 v2, v2, 0
	v_bfe_i32 v41, v41, 0, 8
	v_add_nc_u16 v46, v46, v47
	v_add_nc_u16 v22, v54, v22
	v_and_b32_e32 v39, 0xffff, v39
	v_and_b32_e32 v54, 0xffff, v2
	v_max_i16 v2, v41, 0
	v_bfe_i32 v41, v46, 0, 8
	s_wait_loadcnt 0x1
	s_wait_alu 0xfffe
	v_cndmask_b32_e32 v47, 0, v83, vcc_lo
	s_and_b32 vcc_lo, s1, s0
	v_cmp_gt_i32_e64 s0, s15, v0
	v_and_b32_e32 v55, 0xffff, v2
	v_bfe_i32 v22, v22, 0, 8
	v_lshrrev_b32_e32 v46, 8, v47
	v_add_nc_u16 v12, v47, v12
	v_max_i16 v41, v41, 0
	v_max_i16 v62, v62, 0
	;; [unrolled: 1-line block ×3, first 2 shown]
	v_add_nc_u16 v2, v46, v13
	v_lshrrev_b32_e32 v13, 16, v47
	v_bfe_i32 v12, v12, 0, 8
	v_bfe_i32 v40, v40, 0, 8
	;; [unrolled: 1-line block ×3, first 2 shown]
	s_wait_loadcnt 0x0
	s_wait_alu 0xfffe
	v_cndmask_b32_e32 v46, 0, v69, vcc_lo
	v_bfe_i32 v2, v2, 0, 8
	v_add_nc_u16 v13, v13, v14
	v_lshrrev_b32_e32 v14, 24, v47
	v_cmp_gt_i32_e32 vcc_lo, s28, v1
	v_lshrrev_b32_e32 v47, 8, v46
	v_max_i16 v2, v2, 0
	v_add_nc_u16 v16, v46, v16
	v_max_i16 v12, v12, 0
	s_and_b32 s1, s0, vcc_lo
	v_add_nc_u16 v17, v47, v17
	v_and_b32_e32 v47, 0xffff, v2
	v_add_nc_u16 v2, v14, v15
	v_bfe_i32 v14, v16, 0, 8
	v_lshrrev_b32_e32 v16, 16, v46
	v_bfe_i32 v15, v17, 0, 8
	v_lshrrev_b32_e32 v17, 24, v46
	v_bfe_i32 v2, v2, 0, 8
	v_bfe_i32 v13, v13, 0, 8
	v_add_nc_u16 v16, v16, v18
	v_and_b32_e32 v12, 0xffff, v12
	v_add_nc_u16 v17, v17, v19
	v_max_i16 v18, v2, 0
	v_mul_lo_u32 v2, v0, s34
	v_bfe_i32 v16, v16, 0, 8
	v_lshl_or_b32 v19, v24, 8, v23
	v_bfe_i32 v17, v17, 0, 8
	v_lshlrev_b32_e32 v23, 16, v25
	v_lshlrev_b32_e32 v24, 24, v33
	v_max_i16 v13, v13, 0
	v_max_i16 v14, v14, 0
	v_mad_co_u64_u32 v[0:1], null, v1, s35, v[2:3]
	v_max_i16 v2, v17, 0
	s_wait_alu 0xfffe
	v_cndmask_b32_e64 v17, 0x80000000, 0, s1
	v_cmp_gt_i32_e64 s1, s28, v30
	v_max_i16 v1, v16, 0
	v_or3_b32 v16, v19, v23, v24
	v_lshl_or_b32 v23, v35, 8, v29
	v_add_nc_u32_e32 v19, s3, v0
	s_and_b32 s0, s0, s1
	v_lshlrev_b32_e32 v3, 16, v3
	v_lshlrev_b32_e32 v24, 24, v36
	s_wait_alu 0xfffe
	v_cndmask_b32_e64 v25, 0x80000000, 0, s0
	v_cmp_gt_i32_e64 s0, s15, v31
	v_add_nc_u32_e32 v17, v17, v0
	v_add_nc_u32_e32 v0, s34, v0
	v_or3_b32 v3, v23, v3, v24
	v_add_nc_u32_e32 v23, v25, v19
	s_and_b32 s2, s0, s1
	s_clause 0x1
	buffer_store_b32 v16, v17, s[20:23], null offen
	buffer_store_b32 v3, v23, s[20:23], null offen
	v_cndmask_b32_e64 v16, 0x80000000, 0, s2
	v_cmp_gt_i32_e64 s2, s15, v42
	v_lshl_or_b32 v24, v50, 8, v34
	v_lshlrev_b32_e32 v25, 24, v51
	s_and_b32 s0, s0, vcc_lo
	v_add_nc_u32_e32 v3, s34, v19
	s_wait_alu 0xfffe
	v_cndmask_b32_e64 v19, 0x80000000, 0, s0
	s_and_b32 s0, s2, vcc_lo
	v_lshlrev_b32_e32 v17, 24, v49
	v_or3_b32 v5, v24, v5, v25
	v_lshlrev_b32_e32 v23, 24, v53
	s_wait_alu 0xfffe
	v_cndmask_b32_e64 v24, 0x80000000, 0, s0
	v_add_nc_u32_e32 v16, v16, v3
	v_add_nc_u32_e32 v3, s34, v3
	s_and_b32 s0, s2, s1
	v_or3_b32 v4, v4, v8, v17
	v_add_nc_u32_e32 v8, v0, v19
	v_or3_b32 v6, v6, v9, v23
	v_add3_u32 v0, v24, s34, v0
	s_wait_alu 0xfffe
	v_cndmask_b32_e64 v19, 0x80000000, 0, s0
	v_cmp_gt_i32_e64 s0, s15, v48
	v_lshl_or_b32 v9, v60, 8, v26
	v_lshlrev_b32_e32 v17, 24, v73
	s_clause 0x2
	buffer_store_b32 v5, v16, s[20:23], null offen
	buffer_store_b32 v4, v8, s[20:23], null offen
	;; [unrolled: 1-line block ×3, first 2 shown]
	v_add_nc_u32_e32 v5, s34, v3
	s_and_b32 s2, s0, s1
	s_and_b32 s0, s0, vcc_lo
	v_or3_b32 v0, v9, v7, v17
	v_add_nc_u32_e32 v4, v3, v19
	v_lshl_or_b32 v6, v70, 8, v27
	v_lshlrev_b32_e32 v7, 16, v11
	v_lshlrev_b32_e32 v8, 24, v71
	s_wait_alu 0xfffe
	v_cndmask_b32_e64 v9, 0x80000000, 0, s2
	v_subrev_nc_u32_e32 v11, s3, v5
	v_lshlrev_b32_e32 v16, 16, v56
	v_lshlrev_b32_e32 v17, 24, v74
	v_cndmask_b32_e64 v19, 0x80000000, 0, s0
	v_cmp_gt_i32_e64 s0, s15, v77
	buffer_store_b32 v0, v4, s[20:23], null offen
	v_or3_b32 v0, v6, v7, v8
	v_add_nc_u32_e32 v4, v5, v9
	v_or3_b32 v6, v10, v16, v17
	v_add_nc_u32_e32 v7, v11, v19
	s_and_b32 s4, s0, vcc_lo
	s_and_b32 s0, s0, s1
	v_max_i16 v15, v15, 0
	s_clause 0x1
	buffer_store_b32 v0, v4, s[20:23], null offen
	buffer_store_b32 v6, v7, s[20:23], null offen
	v_cndmask_b32_e64 v7, 0x80000000, 0, s0
	v_cmp_ge_i32_e64 s0, s15, v77
	v_and_b32_e32 v14, 0xffff, v14
	v_and_b32_e32 v15, 0xffff, v15
	v_lshl_or_b32 v8, v47, 8, v12
	v_lshlrev_b32_e32 v9, 16, v13
	v_lshlrev_b32_e32 v10, 24, v18
	s_and_b32 s0, s0, s1
	v_lshl_or_b32 v6, v15, 8, v14
	s_wait_alu 0xfffe
	v_cndmask_b32_e64 v12, 0x80000000, 0, s0
	v_cmp_gt_i32_e64 s0, s15, v63
	v_or3_b32 v0, v8, v9, v10
	v_lshlrev_b32_e32 v1, 16, v1
	v_lshlrev_b32_e32 v2, 24, v2
	v_lshl_or_b32 v8, v55, 8, v54
	v_lshlrev_b32_e32 v9, 16, v41
	v_lshlrev_b32_e32 v10, 24, v22
	s_lshl_b32 s2, s34, 6
	v_cndmask_b32_e64 v4, 0x80000000, 0, s4
	s_and_b32 s0, s0, vcc_lo
	s_wait_alu 0xfffe
	v_add_nc_u32_e32 v3, s2, v3
	v_or3_b32 v1, v6, v1, v2
	v_add3_u32 v2, v5, s2, v7
	v_or3_b32 v5, v8, v9, v10
	v_cndmask_b32_e64 v10, 0x80000000, 0, s0
	v_cmp_ge_i32_e64 s0, s15, v63
	v_add3_u32 v4, v4, s2, v11
	v_add_nc_u32_e32 v6, v3, v12
	v_subrev_nc_u32_e32 v3, s3, v3
	s_clause 0x2
	buffer_store_b32 v0, v4, s[20:23], null offen
	buffer_store_b32 v1, v2, s[20:23], null offen
	;; [unrolled: 1-line block ×3, first 2 shown]
	s_and_b32 s0, s0, vcc_lo
	v_add_nc_u32_e32 v1, v3, v10
	s_wait_alu 0xfffe
	v_cndmask_b32_e64 v6, 0x80000000, 0, s0
	v_cmp_gt_i32_e64 s0, s15, v67
	v_subrev_nc_u32_e32 v2, s34, v3
	v_lshl_or_b32 v3, v39, 8, v38
	v_lshlrev_b32_e32 v4, 16, v62
	v_lshlrev_b32_e32 v5, 24, v76
	v_max_i16 v40, v40, 0
	v_bfe_i32 v44, v44, 0, 8
	v_and_b32_e32 v21, 0xffff, v21
	v_max_i16 v45, v45, 0
	v_bfe_i32 v28, v28, 0, 8
	s_and_b32 s0, s0, s1
	v_or3_b32 v3, v3, v4, v5
	v_add_nc_u32_e32 v4, s3, v2
	v_add_nc_u32_e32 v2, v2, v6
	s_wait_alu 0xfffe
	v_cndmask_b32_e64 v6, 0x80000000, 0, s0
	v_cmp_gt_i32_e64 s0, s15, v61
	v_max_i16 v37, v37, 0
	v_and_b32_e32 v40, 0xffff, v40
	v_max_i16 v44, v44, 0
	v_lshl_or_b32 v7, v21, 8, v57
	v_lshlrev_b32_e32 v8, 16, v65
	v_lshlrev_b32_e32 v9, 24, v45
	v_max_i16 v28, v28, 0
	v_max_i16 v58, v58, 0
	v_cmp_ge_i32_e64 s2, s15, v67
	s_and_b32 s0, s0, vcc_lo
	v_and_b32_e32 v37, 0xffff, v37
	v_or3_b32 v0, v7, v8, v9
	v_lshl_or_b32 v7, v59, 8, v40
	v_lshlrev_b32_e32 v8, 16, v44
	v_lshlrev_b32_e32 v9, 24, v72
	v_and_b32_e32 v28, 0xffff, v28
	v_and_b32_e32 v58, 0xffff, v58
	v_max_i16 v66, v66, 0
	s_wait_alu 0xfffe
	v_cndmask_b32_e64 v11, 0x80000000, 0, s0
	s_and_b32 s0, s2, s1
	v_or3_b32 v5, v7, v8, v9
	v_subrev_nc_u32_e32 v7, s34, v4
	v_lshl_or_b32 v8, v64, 8, v37
	v_lshlrev_b32_e32 v9, 16, v20
	v_lshlrev_b32_e32 v10, 24, v68
	s_wait_alu 0xfffe
	v_cndmask_b32_e64 v12, 0x80000000, 0, s0
	v_lshl_or_b32 v13, v58, 8, v28
	v_lshlrev_b32_e32 v14, 16, v66
	v_lshlrev_b32_e32 v15, 24, v75
	v_subrev_nc_u32_e32 v11, s3, v11
	v_add_nc_u32_e32 v4, v4, v6
	v_or3_b32 v6, v8, v9, v10
	v_add_nc_u32_e32 v8, v7, v12
	v_or3_b32 v9, v13, v14, v15
	v_add_nc_u32_e32 v7, v11, v7
	s_clause 0x4
	buffer_store_b32 v0, v1, s[20:23], null offen
	buffer_store_b32 v3, v2, s[20:23], null offen
	;; [unrolled: 1-line block ×5, first 2 shown]
	s_nop 0
	s_sendmsg sendmsg(MSG_DEALLOC_VGPRS)
	s_endpgm
	.section	.rodata,"a",@progbits
	.p2align	6, 0x0
	.amdhsa_kernel _ZN2ck16tensor_operation6device12_GLOBAL__N_137kernel_grouped_conv_fwd_dl_multiple_dINS_32GridwiseGemmDlMultipleD_km_kn_mnILi256EaiNS_5TupleIJaEEEaNS0_12element_wise11PassThroughES8_NS7_7AddReluELNS_25InMemoryDataOperationEnumE0ENS_16TensorDescriptorINS5_IJNS_5EmbedINS5_IJiiiiiEEESD_Lb0EEENS_11PassThroughIiEENS_3PadIiiiLb0EEESI_SI_SG_SG_NSC_INS5_IJiiEEESJ_Lb0EEESK_SK_SG_NS_23Merge_v2_magic_divisionINS5_IJiiiiEEEEESN_NS_8RightPadIiiLb0EEESP_NS_7UnMergeISJ_Lb0EEESG_EEENS5_IJNS_8SequenceIJLi0EEEENST_IJLi1EEEENST_IJLi2EEEENST_IJLi3EEEENST_IJLi4EEEENST_IJLi5EEEENST_IJLi6EEEENST_IJLi7EEEENST_IJLi8EEEENST_IJLi9EEEENST_IJLi10EEEENST_IJLi11ELi13ELi15ELi17EEEENST_IJLi12ELi14ELi16ELi18EEEENST_IJLi19EEEENST_IJLi20EEEENST_IJLi22EEEENST_IJLi21EEEEEEENS5_IJNST_IJLi1ELi2ELi3ELi4ELi5EEEES10_S11_S12_S13_S14_NST_IJLi11EEEENST_IJLi12ELi13EEEENST_IJLi14ELi15EEEENST_IJLi16ELi17EEEENST_IJLi18EEEES17_S18_S1A_S19_NST_IJLi23ELi24EEEENST_IJLi25EEEEEEENST_IJLi23ELi25ELi24EEEElEENSB_INS5_IJSR_SP_SP_SR_SG_EEENS5_IJSU_SV_SW_SY_SX_EEENS5_IJNST_IJLi1ELi2EEEESX_SY_NST_IJLi5ELi6EEEES11_EEENST_IJLi5ELi7ELi6EEEElEENSB_INS5_IJSK_SP_SP_EEENS5_IJSU_SV_SW_EEENS5_IJS1P_SX_SY_EEENST_IJLi3ELi4EEEElEELi128ELi128ELi16ELi4ELi4ELi4ELi1ENST_IJLi8ELi2EEEES1Z_NST_IJLi8ELi1ELi1ELi4EEEENST_IJLi2ELi1ELi128ELi1EEEENST_IJLi1ELi2ELi0ELi3EEEES22_NST_IJLi4ELi1ELi1ELi4EEEES22_NST_IJLi1ELi1ELi1ELi4EEEES20_S21_S22_S22_S23_S22_S24_NST_IJLi0ELi1ELi2ELi3ELi4ELi5EEEELi5ELi4EEEaNS5_IJPKaEEEaS8_S8_S9_NSB_INS5_IJSE_SG_SI_SI_SI_SG_SG_SK_SK_SK_SG_SN_SN_SP_SP_SR_SG_SG_NSQ_INS5_IJiNS_17integral_constantIiLi128EEEEEELb0EEENSF_INS2A_IiLi4EEEEEEEENS5_IJSU_SV_SW_SX_SY_SZ_S10_S11_S12_S13_S14_S15_S16_S17_S18_S19_S1A_NST_IJLi23EEEES1J_NST_IJLi24EEEEEEENS5_IJS1C_S10_S11_S12_S13_S14_S1D_S1E_S1F_S1G_S1H_S17_S18_S1A_S19_S1I_S1J_NST_IJLi26EEEENST_IJLi27ELi28EEEENST_IJLi29EEEEEEENST_IJLi26ELi27ELi28ELi29EEEElEENSB_INS5_IJSR_SP_SP_SR_SG_SG_S2D_S2F_EEENS5_IJSU_SV_SW_SY_SX_SZ_S11_S10_EEENS5_IJS1P_SX_SY_S1Q_S11_S12_NST_IJLi9ELi10EEEES1D_EEENST_IJLi8ELi9ELi10ELi11EEEElEENS5_IJNSB_INS5_IJSK_SP_SP_NSQ_INS5_IJiNS2A_IiLi2EEENS2A_IiLi64EEEEEELb0EEES2Z_EEENS5_IJSU_SV_SW_SX_SY_EEENS5_IJS1P_SX_SY_NST_IJLi5ELi6ELi7EEEENST_IJLi8ELi9ELi10EEEEEEENST_IJLi5ELi6ELi7ELi8ELi9ELi10EEEElEEEEES36_NS_31BlockToCTileMap_M00_N00_M01_N01ILi128ELi128ES1Y_Lb0EEENS1_30ComputePtrOffsetOfStridedBatchILi1ELi1ELi1EvEELb1ELb1EEEvPKT0_S3E_T1_PT2_T3_T4_T5_iT6_T7_T8_T9_T10_T11_
		.amdhsa_group_segment_fixed_size 32768
		.amdhsa_private_segment_fixed_size 0
		.amdhsa_kernarg_size 1024
		.amdhsa_user_sgpr_count 2
		.amdhsa_user_sgpr_dispatch_ptr 0
		.amdhsa_user_sgpr_queue_ptr 0
		.amdhsa_user_sgpr_kernarg_segment_ptr 1
		.amdhsa_user_sgpr_dispatch_id 0
		.amdhsa_user_sgpr_private_segment_size 0
		.amdhsa_wavefront_size32 1
		.amdhsa_uses_dynamic_stack 0
		.amdhsa_enable_private_segment 0
		.amdhsa_system_sgpr_workgroup_id_x 1
		.amdhsa_system_sgpr_workgroup_id_y 0
		.amdhsa_system_sgpr_workgroup_id_z 0
		.amdhsa_system_sgpr_workgroup_info 0
		.amdhsa_system_vgpr_workitem_id 0
		.amdhsa_next_free_vgpr 202
		.amdhsa_next_free_sgpr 84
		.amdhsa_reserve_vcc 1
		.amdhsa_float_round_mode_32 0
		.amdhsa_float_round_mode_16_64 0
		.amdhsa_float_denorm_mode_32 3
		.amdhsa_float_denorm_mode_16_64 3
		.amdhsa_fp16_overflow 0
		.amdhsa_workgroup_processor_mode 1
		.amdhsa_memory_ordered 1
		.amdhsa_forward_progress 1
		.amdhsa_inst_pref_size 255
		.amdhsa_round_robin_scheduling 0
		.amdhsa_exception_fp_ieee_invalid_op 0
		.amdhsa_exception_fp_denorm_src 0
		.amdhsa_exception_fp_ieee_div_zero 0
		.amdhsa_exception_fp_ieee_overflow 0
		.amdhsa_exception_fp_ieee_underflow 0
		.amdhsa_exception_fp_ieee_inexact 0
		.amdhsa_exception_int_div_zero 0
	.end_amdhsa_kernel
	.section	.text._ZN2ck16tensor_operation6device12_GLOBAL__N_137kernel_grouped_conv_fwd_dl_multiple_dINS_32GridwiseGemmDlMultipleD_km_kn_mnILi256EaiNS_5TupleIJaEEEaNS0_12element_wise11PassThroughES8_NS7_7AddReluELNS_25InMemoryDataOperationEnumE0ENS_16TensorDescriptorINS5_IJNS_5EmbedINS5_IJiiiiiEEESD_Lb0EEENS_11PassThroughIiEENS_3PadIiiiLb0EEESI_SI_SG_SG_NSC_INS5_IJiiEEESJ_Lb0EEESK_SK_SG_NS_23Merge_v2_magic_divisionINS5_IJiiiiEEEEESN_NS_8RightPadIiiLb0EEESP_NS_7UnMergeISJ_Lb0EEESG_EEENS5_IJNS_8SequenceIJLi0EEEENST_IJLi1EEEENST_IJLi2EEEENST_IJLi3EEEENST_IJLi4EEEENST_IJLi5EEEENST_IJLi6EEEENST_IJLi7EEEENST_IJLi8EEEENST_IJLi9EEEENST_IJLi10EEEENST_IJLi11ELi13ELi15ELi17EEEENST_IJLi12ELi14ELi16ELi18EEEENST_IJLi19EEEENST_IJLi20EEEENST_IJLi22EEEENST_IJLi21EEEEEEENS5_IJNST_IJLi1ELi2ELi3ELi4ELi5EEEES10_S11_S12_S13_S14_NST_IJLi11EEEENST_IJLi12ELi13EEEENST_IJLi14ELi15EEEENST_IJLi16ELi17EEEENST_IJLi18EEEES17_S18_S1A_S19_NST_IJLi23ELi24EEEENST_IJLi25EEEEEEENST_IJLi23ELi25ELi24EEEElEENSB_INS5_IJSR_SP_SP_SR_SG_EEENS5_IJSU_SV_SW_SY_SX_EEENS5_IJNST_IJLi1ELi2EEEESX_SY_NST_IJLi5ELi6EEEES11_EEENST_IJLi5ELi7ELi6EEEElEENSB_INS5_IJSK_SP_SP_EEENS5_IJSU_SV_SW_EEENS5_IJS1P_SX_SY_EEENST_IJLi3ELi4EEEElEELi128ELi128ELi16ELi4ELi4ELi4ELi1ENST_IJLi8ELi2EEEES1Z_NST_IJLi8ELi1ELi1ELi4EEEENST_IJLi2ELi1ELi128ELi1EEEENST_IJLi1ELi2ELi0ELi3EEEES22_NST_IJLi4ELi1ELi1ELi4EEEES22_NST_IJLi1ELi1ELi1ELi4EEEES20_S21_S22_S22_S23_S22_S24_NST_IJLi0ELi1ELi2ELi3ELi4ELi5EEEELi5ELi4EEEaNS5_IJPKaEEEaS8_S8_S9_NSB_INS5_IJSE_SG_SI_SI_SI_SG_SG_SK_SK_SK_SG_SN_SN_SP_SP_SR_SG_SG_NSQ_INS5_IJiNS_17integral_constantIiLi128EEEEEELb0EEENSF_INS2A_IiLi4EEEEEEEENS5_IJSU_SV_SW_SX_SY_SZ_S10_S11_S12_S13_S14_S15_S16_S17_S18_S19_S1A_NST_IJLi23EEEES1J_NST_IJLi24EEEEEEENS5_IJS1C_S10_S11_S12_S13_S14_S1D_S1E_S1F_S1G_S1H_S17_S18_S1A_S19_S1I_S1J_NST_IJLi26EEEENST_IJLi27ELi28EEEENST_IJLi29EEEEEEENST_IJLi26ELi27ELi28ELi29EEEElEENSB_INS5_IJSR_SP_SP_SR_SG_SG_S2D_S2F_EEENS5_IJSU_SV_SW_SY_SX_SZ_S11_S10_EEENS5_IJS1P_SX_SY_S1Q_S11_S12_NST_IJLi9ELi10EEEES1D_EEENST_IJLi8ELi9ELi10ELi11EEEElEENS5_IJNSB_INS5_IJSK_SP_SP_NSQ_INS5_IJiNS2A_IiLi2EEENS2A_IiLi64EEEEEELb0EEES2Z_EEENS5_IJSU_SV_SW_SX_SY_EEENS5_IJS1P_SX_SY_NST_IJLi5ELi6ELi7EEEENST_IJLi8ELi9ELi10EEEEEEENST_IJLi5ELi6ELi7ELi8ELi9ELi10EEEElEEEEES36_NS_31BlockToCTileMap_M00_N00_M01_N01ILi128ELi128ES1Y_Lb0EEENS1_30ComputePtrOffsetOfStridedBatchILi1ELi1ELi1EvEELb1ELb1EEEvPKT0_S3E_T1_PT2_T3_T4_T5_iT6_T7_T8_T9_T10_T11_,"axG",@progbits,_ZN2ck16tensor_operation6device12_GLOBAL__N_137kernel_grouped_conv_fwd_dl_multiple_dINS_32GridwiseGemmDlMultipleD_km_kn_mnILi256EaiNS_5TupleIJaEEEaNS0_12element_wise11PassThroughES8_NS7_7AddReluELNS_25InMemoryDataOperationEnumE0ENS_16TensorDescriptorINS5_IJNS_5EmbedINS5_IJiiiiiEEESD_Lb0EEENS_11PassThroughIiEENS_3PadIiiiLb0EEESI_SI_SG_SG_NSC_INS5_IJiiEEESJ_Lb0EEESK_SK_SG_NS_23Merge_v2_magic_divisionINS5_IJiiiiEEEEESN_NS_8RightPadIiiLb0EEESP_NS_7UnMergeISJ_Lb0EEESG_EEENS5_IJNS_8SequenceIJLi0EEEENST_IJLi1EEEENST_IJLi2EEEENST_IJLi3EEEENST_IJLi4EEEENST_IJLi5EEEENST_IJLi6EEEENST_IJLi7EEEENST_IJLi8EEEENST_IJLi9EEEENST_IJLi10EEEENST_IJLi11ELi13ELi15ELi17EEEENST_IJLi12ELi14ELi16ELi18EEEENST_IJLi19EEEENST_IJLi20EEEENST_IJLi22EEEENST_IJLi21EEEEEEENS5_IJNST_IJLi1ELi2ELi3ELi4ELi5EEEES10_S11_S12_S13_S14_NST_IJLi11EEEENST_IJLi12ELi13EEEENST_IJLi14ELi15EEEENST_IJLi16ELi17EEEENST_IJLi18EEEES17_S18_S1A_S19_NST_IJLi23ELi24EEEENST_IJLi25EEEEEEENST_IJLi23ELi25ELi24EEEElEENSB_INS5_IJSR_SP_SP_SR_SG_EEENS5_IJSU_SV_SW_SY_SX_EEENS5_IJNST_IJLi1ELi2EEEESX_SY_NST_IJLi5ELi6EEEES11_EEENST_IJLi5ELi7ELi6EEEElEENSB_INS5_IJSK_SP_SP_EEENS5_IJSU_SV_SW_EEENS5_IJS1P_SX_SY_EEENST_IJLi3ELi4EEEElEELi128ELi128ELi16ELi4ELi4ELi4ELi1ENST_IJLi8ELi2EEEES1Z_NST_IJLi8ELi1ELi1ELi4EEEENST_IJLi2ELi1ELi128ELi1EEEENST_IJLi1ELi2ELi0ELi3EEEES22_NST_IJLi4ELi1ELi1ELi4EEEES22_NST_IJLi1ELi1ELi1ELi4EEEES20_S21_S22_S22_S23_S22_S24_NST_IJLi0ELi1ELi2ELi3ELi4ELi5EEEELi5ELi4EEEaNS5_IJPKaEEEaS8_S8_S9_NSB_INS5_IJSE_SG_SI_SI_SI_SG_SG_SK_SK_SK_SG_SN_SN_SP_SP_SR_SG_SG_NSQ_INS5_IJiNS_17integral_constantIiLi128EEEEEELb0EEENSF_INS2A_IiLi4EEEEEEEENS5_IJSU_SV_SW_SX_SY_SZ_S10_S11_S12_S13_S14_S15_S16_S17_S18_S19_S1A_NST_IJLi23EEEES1J_NST_IJLi24EEEEEEENS5_IJS1C_S10_S11_S12_S13_S14_S1D_S1E_S1F_S1G_S1H_S17_S18_S1A_S19_S1I_S1J_NST_IJLi26EEEENST_IJLi27ELi28EEEENST_IJLi29EEEEEEENST_IJLi26ELi27ELi28ELi29EEEElEENSB_INS5_IJSR_SP_SP_SR_SG_SG_S2D_S2F_EEENS5_IJSU_SV_SW_SY_SX_SZ_S11_S10_EEENS5_IJS1P_SX_SY_S1Q_S11_S12_NST_IJLi9ELi10EEEES1D_EEENST_IJLi8ELi9ELi10ELi11EEEElEENS5_IJNSB_INS5_IJSK_SP_SP_NSQ_INS5_IJiNS2A_IiLi2EEENS2A_IiLi64EEEEEELb0EEES2Z_EEENS5_IJSU_SV_SW_SX_SY_EEENS5_IJS1P_SX_SY_NST_IJLi5ELi6ELi7EEEENST_IJLi8ELi9ELi10EEEEEEENST_IJLi5ELi6ELi7ELi8ELi9ELi10EEEElEEEEES36_NS_31BlockToCTileMap_M00_N00_M01_N01ILi128ELi128ES1Y_Lb0EEENS1_30ComputePtrOffsetOfStridedBatchILi1ELi1ELi1EvEELb1ELb1EEEvPKT0_S3E_T1_PT2_T3_T4_T5_iT6_T7_T8_T9_T10_T11_,comdat
.Lfunc_end9:
	.size	_ZN2ck16tensor_operation6device12_GLOBAL__N_137kernel_grouped_conv_fwd_dl_multiple_dINS_32GridwiseGemmDlMultipleD_km_kn_mnILi256EaiNS_5TupleIJaEEEaNS0_12element_wise11PassThroughES8_NS7_7AddReluELNS_25InMemoryDataOperationEnumE0ENS_16TensorDescriptorINS5_IJNS_5EmbedINS5_IJiiiiiEEESD_Lb0EEENS_11PassThroughIiEENS_3PadIiiiLb0EEESI_SI_SG_SG_NSC_INS5_IJiiEEESJ_Lb0EEESK_SK_SG_NS_23Merge_v2_magic_divisionINS5_IJiiiiEEEEESN_NS_8RightPadIiiLb0EEESP_NS_7UnMergeISJ_Lb0EEESG_EEENS5_IJNS_8SequenceIJLi0EEEENST_IJLi1EEEENST_IJLi2EEEENST_IJLi3EEEENST_IJLi4EEEENST_IJLi5EEEENST_IJLi6EEEENST_IJLi7EEEENST_IJLi8EEEENST_IJLi9EEEENST_IJLi10EEEENST_IJLi11ELi13ELi15ELi17EEEENST_IJLi12ELi14ELi16ELi18EEEENST_IJLi19EEEENST_IJLi20EEEENST_IJLi22EEEENST_IJLi21EEEEEEENS5_IJNST_IJLi1ELi2ELi3ELi4ELi5EEEES10_S11_S12_S13_S14_NST_IJLi11EEEENST_IJLi12ELi13EEEENST_IJLi14ELi15EEEENST_IJLi16ELi17EEEENST_IJLi18EEEES17_S18_S1A_S19_NST_IJLi23ELi24EEEENST_IJLi25EEEEEEENST_IJLi23ELi25ELi24EEEElEENSB_INS5_IJSR_SP_SP_SR_SG_EEENS5_IJSU_SV_SW_SY_SX_EEENS5_IJNST_IJLi1ELi2EEEESX_SY_NST_IJLi5ELi6EEEES11_EEENST_IJLi5ELi7ELi6EEEElEENSB_INS5_IJSK_SP_SP_EEENS5_IJSU_SV_SW_EEENS5_IJS1P_SX_SY_EEENST_IJLi3ELi4EEEElEELi128ELi128ELi16ELi4ELi4ELi4ELi1ENST_IJLi8ELi2EEEES1Z_NST_IJLi8ELi1ELi1ELi4EEEENST_IJLi2ELi1ELi128ELi1EEEENST_IJLi1ELi2ELi0ELi3EEEES22_NST_IJLi4ELi1ELi1ELi4EEEES22_NST_IJLi1ELi1ELi1ELi4EEEES20_S21_S22_S22_S23_S22_S24_NST_IJLi0ELi1ELi2ELi3ELi4ELi5EEEELi5ELi4EEEaNS5_IJPKaEEEaS8_S8_S9_NSB_INS5_IJSE_SG_SI_SI_SI_SG_SG_SK_SK_SK_SG_SN_SN_SP_SP_SR_SG_SG_NSQ_INS5_IJiNS_17integral_constantIiLi128EEEEEELb0EEENSF_INS2A_IiLi4EEEEEEEENS5_IJSU_SV_SW_SX_SY_SZ_S10_S11_S12_S13_S14_S15_S16_S17_S18_S19_S1A_NST_IJLi23EEEES1J_NST_IJLi24EEEEEEENS5_IJS1C_S10_S11_S12_S13_S14_S1D_S1E_S1F_S1G_S1H_S17_S18_S1A_S19_S1I_S1J_NST_IJLi26EEEENST_IJLi27ELi28EEEENST_IJLi29EEEEEEENST_IJLi26ELi27ELi28ELi29EEEElEENSB_INS5_IJSR_SP_SP_SR_SG_SG_S2D_S2F_EEENS5_IJSU_SV_SW_SY_SX_SZ_S11_S10_EEENS5_IJS1P_SX_SY_S1Q_S11_S12_NST_IJLi9ELi10EEEES1D_EEENST_IJLi8ELi9ELi10ELi11EEEElEENS5_IJNSB_INS5_IJSK_SP_SP_NSQ_INS5_IJiNS2A_IiLi2EEENS2A_IiLi64EEEEEELb0EEES2Z_EEENS5_IJSU_SV_SW_SX_SY_EEENS5_IJS1P_SX_SY_NST_IJLi5ELi6ELi7EEEENST_IJLi8ELi9ELi10EEEEEEENST_IJLi5ELi6ELi7ELi8ELi9ELi10EEEElEEEEES36_NS_31BlockToCTileMap_M00_N00_M01_N01ILi128ELi128ES1Y_Lb0EEENS1_30ComputePtrOffsetOfStridedBatchILi1ELi1ELi1EvEELb1ELb1EEEvPKT0_S3E_T1_PT2_T3_T4_T5_iT6_T7_T8_T9_T10_T11_, .Lfunc_end9-_ZN2ck16tensor_operation6device12_GLOBAL__N_137kernel_grouped_conv_fwd_dl_multiple_dINS_32GridwiseGemmDlMultipleD_km_kn_mnILi256EaiNS_5TupleIJaEEEaNS0_12element_wise11PassThroughES8_NS7_7AddReluELNS_25InMemoryDataOperationEnumE0ENS_16TensorDescriptorINS5_IJNS_5EmbedINS5_IJiiiiiEEESD_Lb0EEENS_11PassThroughIiEENS_3PadIiiiLb0EEESI_SI_SG_SG_NSC_INS5_IJiiEEESJ_Lb0EEESK_SK_SG_NS_23Merge_v2_magic_divisionINS5_IJiiiiEEEEESN_NS_8RightPadIiiLb0EEESP_NS_7UnMergeISJ_Lb0EEESG_EEENS5_IJNS_8SequenceIJLi0EEEENST_IJLi1EEEENST_IJLi2EEEENST_IJLi3EEEENST_IJLi4EEEENST_IJLi5EEEENST_IJLi6EEEENST_IJLi7EEEENST_IJLi8EEEENST_IJLi9EEEENST_IJLi10EEEENST_IJLi11ELi13ELi15ELi17EEEENST_IJLi12ELi14ELi16ELi18EEEENST_IJLi19EEEENST_IJLi20EEEENST_IJLi22EEEENST_IJLi21EEEEEEENS5_IJNST_IJLi1ELi2ELi3ELi4ELi5EEEES10_S11_S12_S13_S14_NST_IJLi11EEEENST_IJLi12ELi13EEEENST_IJLi14ELi15EEEENST_IJLi16ELi17EEEENST_IJLi18EEEES17_S18_S1A_S19_NST_IJLi23ELi24EEEENST_IJLi25EEEEEEENST_IJLi23ELi25ELi24EEEElEENSB_INS5_IJSR_SP_SP_SR_SG_EEENS5_IJSU_SV_SW_SY_SX_EEENS5_IJNST_IJLi1ELi2EEEESX_SY_NST_IJLi5ELi6EEEES11_EEENST_IJLi5ELi7ELi6EEEElEENSB_INS5_IJSK_SP_SP_EEENS5_IJSU_SV_SW_EEENS5_IJS1P_SX_SY_EEENST_IJLi3ELi4EEEElEELi128ELi128ELi16ELi4ELi4ELi4ELi1ENST_IJLi8ELi2EEEES1Z_NST_IJLi8ELi1ELi1ELi4EEEENST_IJLi2ELi1ELi128ELi1EEEENST_IJLi1ELi2ELi0ELi3EEEES22_NST_IJLi4ELi1ELi1ELi4EEEES22_NST_IJLi1ELi1ELi1ELi4EEEES20_S21_S22_S22_S23_S22_S24_NST_IJLi0ELi1ELi2ELi3ELi4ELi5EEEELi5ELi4EEEaNS5_IJPKaEEEaS8_S8_S9_NSB_INS5_IJSE_SG_SI_SI_SI_SG_SG_SK_SK_SK_SG_SN_SN_SP_SP_SR_SG_SG_NSQ_INS5_IJiNS_17integral_constantIiLi128EEEEEELb0EEENSF_INS2A_IiLi4EEEEEEEENS5_IJSU_SV_SW_SX_SY_SZ_S10_S11_S12_S13_S14_S15_S16_S17_S18_S19_S1A_NST_IJLi23EEEES1J_NST_IJLi24EEEEEEENS5_IJS1C_S10_S11_S12_S13_S14_S1D_S1E_S1F_S1G_S1H_S17_S18_S1A_S19_S1I_S1J_NST_IJLi26EEEENST_IJLi27ELi28EEEENST_IJLi29EEEEEEENST_IJLi26ELi27ELi28ELi29EEEElEENSB_INS5_IJSR_SP_SP_SR_SG_SG_S2D_S2F_EEENS5_IJSU_SV_SW_SY_SX_SZ_S11_S10_EEENS5_IJS1P_SX_SY_S1Q_S11_S12_NST_IJLi9ELi10EEEES1D_EEENST_IJLi8ELi9ELi10ELi11EEEElEENS5_IJNSB_INS5_IJSK_SP_SP_NSQ_INS5_IJiNS2A_IiLi2EEENS2A_IiLi64EEEEEELb0EEES2Z_EEENS5_IJSU_SV_SW_SX_SY_EEENS5_IJS1P_SX_SY_NST_IJLi5ELi6ELi7EEEENST_IJLi8ELi9ELi10EEEEEEENST_IJLi5ELi6ELi7ELi8ELi9ELi10EEEElEEEEES36_NS_31BlockToCTileMap_M00_N00_M01_N01ILi128ELi128ES1Y_Lb0EEENS1_30ComputePtrOffsetOfStridedBatchILi1ELi1ELi1EvEELb1ELb1EEEvPKT0_S3E_T1_PT2_T3_T4_T5_iT6_T7_T8_T9_T10_T11_
                                        ; -- End function
	.set _ZN2ck16tensor_operation6device12_GLOBAL__N_137kernel_grouped_conv_fwd_dl_multiple_dINS_32GridwiseGemmDlMultipleD_km_kn_mnILi256EaiNS_5TupleIJaEEEaNS0_12element_wise11PassThroughES8_NS7_7AddReluELNS_25InMemoryDataOperationEnumE0ENS_16TensorDescriptorINS5_IJNS_5EmbedINS5_IJiiiiiEEESD_Lb0EEENS_11PassThroughIiEENS_3PadIiiiLb0EEESI_SI_SG_SG_NSC_INS5_IJiiEEESJ_Lb0EEESK_SK_SG_NS_23Merge_v2_magic_divisionINS5_IJiiiiEEEEESN_NS_8RightPadIiiLb0EEESP_NS_7UnMergeISJ_Lb0EEESG_EEENS5_IJNS_8SequenceIJLi0EEEENST_IJLi1EEEENST_IJLi2EEEENST_IJLi3EEEENST_IJLi4EEEENST_IJLi5EEEENST_IJLi6EEEENST_IJLi7EEEENST_IJLi8EEEENST_IJLi9EEEENST_IJLi10EEEENST_IJLi11ELi13ELi15ELi17EEEENST_IJLi12ELi14ELi16ELi18EEEENST_IJLi19EEEENST_IJLi20EEEENST_IJLi22EEEENST_IJLi21EEEEEEENS5_IJNST_IJLi1ELi2ELi3ELi4ELi5EEEES10_S11_S12_S13_S14_NST_IJLi11EEEENST_IJLi12ELi13EEEENST_IJLi14ELi15EEEENST_IJLi16ELi17EEEENST_IJLi18EEEES17_S18_S1A_S19_NST_IJLi23ELi24EEEENST_IJLi25EEEEEEENST_IJLi23ELi25ELi24EEEElEENSB_INS5_IJSR_SP_SP_SR_SG_EEENS5_IJSU_SV_SW_SY_SX_EEENS5_IJNST_IJLi1ELi2EEEESX_SY_NST_IJLi5ELi6EEEES11_EEENST_IJLi5ELi7ELi6EEEElEENSB_INS5_IJSK_SP_SP_EEENS5_IJSU_SV_SW_EEENS5_IJS1P_SX_SY_EEENST_IJLi3ELi4EEEElEELi128ELi128ELi16ELi4ELi4ELi4ELi1ENST_IJLi8ELi2EEEES1Z_NST_IJLi8ELi1ELi1ELi4EEEENST_IJLi2ELi1ELi128ELi1EEEENST_IJLi1ELi2ELi0ELi3EEEES22_NST_IJLi4ELi1ELi1ELi4EEEES22_NST_IJLi1ELi1ELi1ELi4EEEES20_S21_S22_S22_S23_S22_S24_NST_IJLi0ELi1ELi2ELi3ELi4ELi5EEEELi5ELi4EEEaNS5_IJPKaEEEaS8_S8_S9_NSB_INS5_IJSE_SG_SI_SI_SI_SG_SG_SK_SK_SK_SG_SN_SN_SP_SP_SR_SG_SG_NSQ_INS5_IJiNS_17integral_constantIiLi128EEEEEELb0EEENSF_INS2A_IiLi4EEEEEEEENS5_IJSU_SV_SW_SX_SY_SZ_S10_S11_S12_S13_S14_S15_S16_S17_S18_S19_S1A_NST_IJLi23EEEES1J_NST_IJLi24EEEEEEENS5_IJS1C_S10_S11_S12_S13_S14_S1D_S1E_S1F_S1G_S1H_S17_S18_S1A_S19_S1I_S1J_NST_IJLi26EEEENST_IJLi27ELi28EEEENST_IJLi29EEEEEEENST_IJLi26ELi27ELi28ELi29EEEElEENSB_INS5_IJSR_SP_SP_SR_SG_SG_S2D_S2F_EEENS5_IJSU_SV_SW_SY_SX_SZ_S11_S10_EEENS5_IJS1P_SX_SY_S1Q_S11_S12_NST_IJLi9ELi10EEEES1D_EEENST_IJLi8ELi9ELi10ELi11EEEElEENS5_IJNSB_INS5_IJSK_SP_SP_NSQ_INS5_IJiNS2A_IiLi2EEENS2A_IiLi64EEEEEELb0EEES2Z_EEENS5_IJSU_SV_SW_SX_SY_EEENS5_IJS1P_SX_SY_NST_IJLi5ELi6ELi7EEEENST_IJLi8ELi9ELi10EEEEEEENST_IJLi5ELi6ELi7ELi8ELi9ELi10EEEElEEEEES36_NS_31BlockToCTileMap_M00_N00_M01_N01ILi128ELi128ES1Y_Lb0EEENS1_30ComputePtrOffsetOfStridedBatchILi1ELi1ELi1EvEELb1ELb1EEEvPKT0_S3E_T1_PT2_T3_T4_T5_iT6_T7_T8_T9_T10_T11_.num_vgpr, 202
	.set _ZN2ck16tensor_operation6device12_GLOBAL__N_137kernel_grouped_conv_fwd_dl_multiple_dINS_32GridwiseGemmDlMultipleD_km_kn_mnILi256EaiNS_5TupleIJaEEEaNS0_12element_wise11PassThroughES8_NS7_7AddReluELNS_25InMemoryDataOperationEnumE0ENS_16TensorDescriptorINS5_IJNS_5EmbedINS5_IJiiiiiEEESD_Lb0EEENS_11PassThroughIiEENS_3PadIiiiLb0EEESI_SI_SG_SG_NSC_INS5_IJiiEEESJ_Lb0EEESK_SK_SG_NS_23Merge_v2_magic_divisionINS5_IJiiiiEEEEESN_NS_8RightPadIiiLb0EEESP_NS_7UnMergeISJ_Lb0EEESG_EEENS5_IJNS_8SequenceIJLi0EEEENST_IJLi1EEEENST_IJLi2EEEENST_IJLi3EEEENST_IJLi4EEEENST_IJLi5EEEENST_IJLi6EEEENST_IJLi7EEEENST_IJLi8EEEENST_IJLi9EEEENST_IJLi10EEEENST_IJLi11ELi13ELi15ELi17EEEENST_IJLi12ELi14ELi16ELi18EEEENST_IJLi19EEEENST_IJLi20EEEENST_IJLi22EEEENST_IJLi21EEEEEEENS5_IJNST_IJLi1ELi2ELi3ELi4ELi5EEEES10_S11_S12_S13_S14_NST_IJLi11EEEENST_IJLi12ELi13EEEENST_IJLi14ELi15EEEENST_IJLi16ELi17EEEENST_IJLi18EEEES17_S18_S1A_S19_NST_IJLi23ELi24EEEENST_IJLi25EEEEEEENST_IJLi23ELi25ELi24EEEElEENSB_INS5_IJSR_SP_SP_SR_SG_EEENS5_IJSU_SV_SW_SY_SX_EEENS5_IJNST_IJLi1ELi2EEEESX_SY_NST_IJLi5ELi6EEEES11_EEENST_IJLi5ELi7ELi6EEEElEENSB_INS5_IJSK_SP_SP_EEENS5_IJSU_SV_SW_EEENS5_IJS1P_SX_SY_EEENST_IJLi3ELi4EEEElEELi128ELi128ELi16ELi4ELi4ELi4ELi1ENST_IJLi8ELi2EEEES1Z_NST_IJLi8ELi1ELi1ELi4EEEENST_IJLi2ELi1ELi128ELi1EEEENST_IJLi1ELi2ELi0ELi3EEEES22_NST_IJLi4ELi1ELi1ELi4EEEES22_NST_IJLi1ELi1ELi1ELi4EEEES20_S21_S22_S22_S23_S22_S24_NST_IJLi0ELi1ELi2ELi3ELi4ELi5EEEELi5ELi4EEEaNS5_IJPKaEEEaS8_S8_S9_NSB_INS5_IJSE_SG_SI_SI_SI_SG_SG_SK_SK_SK_SG_SN_SN_SP_SP_SR_SG_SG_NSQ_INS5_IJiNS_17integral_constantIiLi128EEEEEELb0EEENSF_INS2A_IiLi4EEEEEEEENS5_IJSU_SV_SW_SX_SY_SZ_S10_S11_S12_S13_S14_S15_S16_S17_S18_S19_S1A_NST_IJLi23EEEES1J_NST_IJLi24EEEEEEENS5_IJS1C_S10_S11_S12_S13_S14_S1D_S1E_S1F_S1G_S1H_S17_S18_S1A_S19_S1I_S1J_NST_IJLi26EEEENST_IJLi27ELi28EEEENST_IJLi29EEEEEEENST_IJLi26ELi27ELi28ELi29EEEElEENSB_INS5_IJSR_SP_SP_SR_SG_SG_S2D_S2F_EEENS5_IJSU_SV_SW_SY_SX_SZ_S11_S10_EEENS5_IJS1P_SX_SY_S1Q_S11_S12_NST_IJLi9ELi10EEEES1D_EEENST_IJLi8ELi9ELi10ELi11EEEElEENS5_IJNSB_INS5_IJSK_SP_SP_NSQ_INS5_IJiNS2A_IiLi2EEENS2A_IiLi64EEEEEELb0EEES2Z_EEENS5_IJSU_SV_SW_SX_SY_EEENS5_IJS1P_SX_SY_NST_IJLi5ELi6ELi7EEEENST_IJLi8ELi9ELi10EEEEEEENST_IJLi5ELi6ELi7ELi8ELi9ELi10EEEElEEEEES36_NS_31BlockToCTileMap_M00_N00_M01_N01ILi128ELi128ES1Y_Lb0EEENS1_30ComputePtrOffsetOfStridedBatchILi1ELi1ELi1EvEELb1ELb1EEEvPKT0_S3E_T1_PT2_T3_T4_T5_iT6_T7_T8_T9_T10_T11_.num_agpr, 0
	.set _ZN2ck16tensor_operation6device12_GLOBAL__N_137kernel_grouped_conv_fwd_dl_multiple_dINS_32GridwiseGemmDlMultipleD_km_kn_mnILi256EaiNS_5TupleIJaEEEaNS0_12element_wise11PassThroughES8_NS7_7AddReluELNS_25InMemoryDataOperationEnumE0ENS_16TensorDescriptorINS5_IJNS_5EmbedINS5_IJiiiiiEEESD_Lb0EEENS_11PassThroughIiEENS_3PadIiiiLb0EEESI_SI_SG_SG_NSC_INS5_IJiiEEESJ_Lb0EEESK_SK_SG_NS_23Merge_v2_magic_divisionINS5_IJiiiiEEEEESN_NS_8RightPadIiiLb0EEESP_NS_7UnMergeISJ_Lb0EEESG_EEENS5_IJNS_8SequenceIJLi0EEEENST_IJLi1EEEENST_IJLi2EEEENST_IJLi3EEEENST_IJLi4EEEENST_IJLi5EEEENST_IJLi6EEEENST_IJLi7EEEENST_IJLi8EEEENST_IJLi9EEEENST_IJLi10EEEENST_IJLi11ELi13ELi15ELi17EEEENST_IJLi12ELi14ELi16ELi18EEEENST_IJLi19EEEENST_IJLi20EEEENST_IJLi22EEEENST_IJLi21EEEEEEENS5_IJNST_IJLi1ELi2ELi3ELi4ELi5EEEES10_S11_S12_S13_S14_NST_IJLi11EEEENST_IJLi12ELi13EEEENST_IJLi14ELi15EEEENST_IJLi16ELi17EEEENST_IJLi18EEEES17_S18_S1A_S19_NST_IJLi23ELi24EEEENST_IJLi25EEEEEEENST_IJLi23ELi25ELi24EEEElEENSB_INS5_IJSR_SP_SP_SR_SG_EEENS5_IJSU_SV_SW_SY_SX_EEENS5_IJNST_IJLi1ELi2EEEESX_SY_NST_IJLi5ELi6EEEES11_EEENST_IJLi5ELi7ELi6EEEElEENSB_INS5_IJSK_SP_SP_EEENS5_IJSU_SV_SW_EEENS5_IJS1P_SX_SY_EEENST_IJLi3ELi4EEEElEELi128ELi128ELi16ELi4ELi4ELi4ELi1ENST_IJLi8ELi2EEEES1Z_NST_IJLi8ELi1ELi1ELi4EEEENST_IJLi2ELi1ELi128ELi1EEEENST_IJLi1ELi2ELi0ELi3EEEES22_NST_IJLi4ELi1ELi1ELi4EEEES22_NST_IJLi1ELi1ELi1ELi4EEEES20_S21_S22_S22_S23_S22_S24_NST_IJLi0ELi1ELi2ELi3ELi4ELi5EEEELi5ELi4EEEaNS5_IJPKaEEEaS8_S8_S9_NSB_INS5_IJSE_SG_SI_SI_SI_SG_SG_SK_SK_SK_SG_SN_SN_SP_SP_SR_SG_SG_NSQ_INS5_IJiNS_17integral_constantIiLi128EEEEEELb0EEENSF_INS2A_IiLi4EEEEEEEENS5_IJSU_SV_SW_SX_SY_SZ_S10_S11_S12_S13_S14_S15_S16_S17_S18_S19_S1A_NST_IJLi23EEEES1J_NST_IJLi24EEEEEEENS5_IJS1C_S10_S11_S12_S13_S14_S1D_S1E_S1F_S1G_S1H_S17_S18_S1A_S19_S1I_S1J_NST_IJLi26EEEENST_IJLi27ELi28EEEENST_IJLi29EEEEEEENST_IJLi26ELi27ELi28ELi29EEEElEENSB_INS5_IJSR_SP_SP_SR_SG_SG_S2D_S2F_EEENS5_IJSU_SV_SW_SY_SX_SZ_S11_S10_EEENS5_IJS1P_SX_SY_S1Q_S11_S12_NST_IJLi9ELi10EEEES1D_EEENST_IJLi8ELi9ELi10ELi11EEEElEENS5_IJNSB_INS5_IJSK_SP_SP_NSQ_INS5_IJiNS2A_IiLi2EEENS2A_IiLi64EEEEEELb0EEES2Z_EEENS5_IJSU_SV_SW_SX_SY_EEENS5_IJS1P_SX_SY_NST_IJLi5ELi6ELi7EEEENST_IJLi8ELi9ELi10EEEEEEENST_IJLi5ELi6ELi7ELi8ELi9ELi10EEEElEEEEES36_NS_31BlockToCTileMap_M00_N00_M01_N01ILi128ELi128ES1Y_Lb0EEENS1_30ComputePtrOffsetOfStridedBatchILi1ELi1ELi1EvEELb1ELb1EEEvPKT0_S3E_T1_PT2_T3_T4_T5_iT6_T7_T8_T9_T10_T11_.numbered_sgpr, 84
	.set _ZN2ck16tensor_operation6device12_GLOBAL__N_137kernel_grouped_conv_fwd_dl_multiple_dINS_32GridwiseGemmDlMultipleD_km_kn_mnILi256EaiNS_5TupleIJaEEEaNS0_12element_wise11PassThroughES8_NS7_7AddReluELNS_25InMemoryDataOperationEnumE0ENS_16TensorDescriptorINS5_IJNS_5EmbedINS5_IJiiiiiEEESD_Lb0EEENS_11PassThroughIiEENS_3PadIiiiLb0EEESI_SI_SG_SG_NSC_INS5_IJiiEEESJ_Lb0EEESK_SK_SG_NS_23Merge_v2_magic_divisionINS5_IJiiiiEEEEESN_NS_8RightPadIiiLb0EEESP_NS_7UnMergeISJ_Lb0EEESG_EEENS5_IJNS_8SequenceIJLi0EEEENST_IJLi1EEEENST_IJLi2EEEENST_IJLi3EEEENST_IJLi4EEEENST_IJLi5EEEENST_IJLi6EEEENST_IJLi7EEEENST_IJLi8EEEENST_IJLi9EEEENST_IJLi10EEEENST_IJLi11ELi13ELi15ELi17EEEENST_IJLi12ELi14ELi16ELi18EEEENST_IJLi19EEEENST_IJLi20EEEENST_IJLi22EEEENST_IJLi21EEEEEEENS5_IJNST_IJLi1ELi2ELi3ELi4ELi5EEEES10_S11_S12_S13_S14_NST_IJLi11EEEENST_IJLi12ELi13EEEENST_IJLi14ELi15EEEENST_IJLi16ELi17EEEENST_IJLi18EEEES17_S18_S1A_S19_NST_IJLi23ELi24EEEENST_IJLi25EEEEEEENST_IJLi23ELi25ELi24EEEElEENSB_INS5_IJSR_SP_SP_SR_SG_EEENS5_IJSU_SV_SW_SY_SX_EEENS5_IJNST_IJLi1ELi2EEEESX_SY_NST_IJLi5ELi6EEEES11_EEENST_IJLi5ELi7ELi6EEEElEENSB_INS5_IJSK_SP_SP_EEENS5_IJSU_SV_SW_EEENS5_IJS1P_SX_SY_EEENST_IJLi3ELi4EEEElEELi128ELi128ELi16ELi4ELi4ELi4ELi1ENST_IJLi8ELi2EEEES1Z_NST_IJLi8ELi1ELi1ELi4EEEENST_IJLi2ELi1ELi128ELi1EEEENST_IJLi1ELi2ELi0ELi3EEEES22_NST_IJLi4ELi1ELi1ELi4EEEES22_NST_IJLi1ELi1ELi1ELi4EEEES20_S21_S22_S22_S23_S22_S24_NST_IJLi0ELi1ELi2ELi3ELi4ELi5EEEELi5ELi4EEEaNS5_IJPKaEEEaS8_S8_S9_NSB_INS5_IJSE_SG_SI_SI_SI_SG_SG_SK_SK_SK_SG_SN_SN_SP_SP_SR_SG_SG_NSQ_INS5_IJiNS_17integral_constantIiLi128EEEEEELb0EEENSF_INS2A_IiLi4EEEEEEEENS5_IJSU_SV_SW_SX_SY_SZ_S10_S11_S12_S13_S14_S15_S16_S17_S18_S19_S1A_NST_IJLi23EEEES1J_NST_IJLi24EEEEEEENS5_IJS1C_S10_S11_S12_S13_S14_S1D_S1E_S1F_S1G_S1H_S17_S18_S1A_S19_S1I_S1J_NST_IJLi26EEEENST_IJLi27ELi28EEEENST_IJLi29EEEEEEENST_IJLi26ELi27ELi28ELi29EEEElEENSB_INS5_IJSR_SP_SP_SR_SG_SG_S2D_S2F_EEENS5_IJSU_SV_SW_SY_SX_SZ_S11_S10_EEENS5_IJS1P_SX_SY_S1Q_S11_S12_NST_IJLi9ELi10EEEES1D_EEENST_IJLi8ELi9ELi10ELi11EEEElEENS5_IJNSB_INS5_IJSK_SP_SP_NSQ_INS5_IJiNS2A_IiLi2EEENS2A_IiLi64EEEEEELb0EEES2Z_EEENS5_IJSU_SV_SW_SX_SY_EEENS5_IJS1P_SX_SY_NST_IJLi5ELi6ELi7EEEENST_IJLi8ELi9ELi10EEEEEEENST_IJLi5ELi6ELi7ELi8ELi9ELi10EEEElEEEEES36_NS_31BlockToCTileMap_M00_N00_M01_N01ILi128ELi128ES1Y_Lb0EEENS1_30ComputePtrOffsetOfStridedBatchILi1ELi1ELi1EvEELb1ELb1EEEvPKT0_S3E_T1_PT2_T3_T4_T5_iT6_T7_T8_T9_T10_T11_.num_named_barrier, 0
	.set _ZN2ck16tensor_operation6device12_GLOBAL__N_137kernel_grouped_conv_fwd_dl_multiple_dINS_32GridwiseGemmDlMultipleD_km_kn_mnILi256EaiNS_5TupleIJaEEEaNS0_12element_wise11PassThroughES8_NS7_7AddReluELNS_25InMemoryDataOperationEnumE0ENS_16TensorDescriptorINS5_IJNS_5EmbedINS5_IJiiiiiEEESD_Lb0EEENS_11PassThroughIiEENS_3PadIiiiLb0EEESI_SI_SG_SG_NSC_INS5_IJiiEEESJ_Lb0EEESK_SK_SG_NS_23Merge_v2_magic_divisionINS5_IJiiiiEEEEESN_NS_8RightPadIiiLb0EEESP_NS_7UnMergeISJ_Lb0EEESG_EEENS5_IJNS_8SequenceIJLi0EEEENST_IJLi1EEEENST_IJLi2EEEENST_IJLi3EEEENST_IJLi4EEEENST_IJLi5EEEENST_IJLi6EEEENST_IJLi7EEEENST_IJLi8EEEENST_IJLi9EEEENST_IJLi10EEEENST_IJLi11ELi13ELi15ELi17EEEENST_IJLi12ELi14ELi16ELi18EEEENST_IJLi19EEEENST_IJLi20EEEENST_IJLi22EEEENST_IJLi21EEEEEEENS5_IJNST_IJLi1ELi2ELi3ELi4ELi5EEEES10_S11_S12_S13_S14_NST_IJLi11EEEENST_IJLi12ELi13EEEENST_IJLi14ELi15EEEENST_IJLi16ELi17EEEENST_IJLi18EEEES17_S18_S1A_S19_NST_IJLi23ELi24EEEENST_IJLi25EEEEEEENST_IJLi23ELi25ELi24EEEElEENSB_INS5_IJSR_SP_SP_SR_SG_EEENS5_IJSU_SV_SW_SY_SX_EEENS5_IJNST_IJLi1ELi2EEEESX_SY_NST_IJLi5ELi6EEEES11_EEENST_IJLi5ELi7ELi6EEEElEENSB_INS5_IJSK_SP_SP_EEENS5_IJSU_SV_SW_EEENS5_IJS1P_SX_SY_EEENST_IJLi3ELi4EEEElEELi128ELi128ELi16ELi4ELi4ELi4ELi1ENST_IJLi8ELi2EEEES1Z_NST_IJLi8ELi1ELi1ELi4EEEENST_IJLi2ELi1ELi128ELi1EEEENST_IJLi1ELi2ELi0ELi3EEEES22_NST_IJLi4ELi1ELi1ELi4EEEES22_NST_IJLi1ELi1ELi1ELi4EEEES20_S21_S22_S22_S23_S22_S24_NST_IJLi0ELi1ELi2ELi3ELi4ELi5EEEELi5ELi4EEEaNS5_IJPKaEEEaS8_S8_S9_NSB_INS5_IJSE_SG_SI_SI_SI_SG_SG_SK_SK_SK_SG_SN_SN_SP_SP_SR_SG_SG_NSQ_INS5_IJiNS_17integral_constantIiLi128EEEEEELb0EEENSF_INS2A_IiLi4EEEEEEEENS5_IJSU_SV_SW_SX_SY_SZ_S10_S11_S12_S13_S14_S15_S16_S17_S18_S19_S1A_NST_IJLi23EEEES1J_NST_IJLi24EEEEEEENS5_IJS1C_S10_S11_S12_S13_S14_S1D_S1E_S1F_S1G_S1H_S17_S18_S1A_S19_S1I_S1J_NST_IJLi26EEEENST_IJLi27ELi28EEEENST_IJLi29EEEEEEENST_IJLi26ELi27ELi28ELi29EEEElEENSB_INS5_IJSR_SP_SP_SR_SG_SG_S2D_S2F_EEENS5_IJSU_SV_SW_SY_SX_SZ_S11_S10_EEENS5_IJS1P_SX_SY_S1Q_S11_S12_NST_IJLi9ELi10EEEES1D_EEENST_IJLi8ELi9ELi10ELi11EEEElEENS5_IJNSB_INS5_IJSK_SP_SP_NSQ_INS5_IJiNS2A_IiLi2EEENS2A_IiLi64EEEEEELb0EEES2Z_EEENS5_IJSU_SV_SW_SX_SY_EEENS5_IJS1P_SX_SY_NST_IJLi5ELi6ELi7EEEENST_IJLi8ELi9ELi10EEEEEEENST_IJLi5ELi6ELi7ELi8ELi9ELi10EEEElEEEEES36_NS_31BlockToCTileMap_M00_N00_M01_N01ILi128ELi128ES1Y_Lb0EEENS1_30ComputePtrOffsetOfStridedBatchILi1ELi1ELi1EvEELb1ELb1EEEvPKT0_S3E_T1_PT2_T3_T4_T5_iT6_T7_T8_T9_T10_T11_.private_seg_size, 0
	.set _ZN2ck16tensor_operation6device12_GLOBAL__N_137kernel_grouped_conv_fwd_dl_multiple_dINS_32GridwiseGemmDlMultipleD_km_kn_mnILi256EaiNS_5TupleIJaEEEaNS0_12element_wise11PassThroughES8_NS7_7AddReluELNS_25InMemoryDataOperationEnumE0ENS_16TensorDescriptorINS5_IJNS_5EmbedINS5_IJiiiiiEEESD_Lb0EEENS_11PassThroughIiEENS_3PadIiiiLb0EEESI_SI_SG_SG_NSC_INS5_IJiiEEESJ_Lb0EEESK_SK_SG_NS_23Merge_v2_magic_divisionINS5_IJiiiiEEEEESN_NS_8RightPadIiiLb0EEESP_NS_7UnMergeISJ_Lb0EEESG_EEENS5_IJNS_8SequenceIJLi0EEEENST_IJLi1EEEENST_IJLi2EEEENST_IJLi3EEEENST_IJLi4EEEENST_IJLi5EEEENST_IJLi6EEEENST_IJLi7EEEENST_IJLi8EEEENST_IJLi9EEEENST_IJLi10EEEENST_IJLi11ELi13ELi15ELi17EEEENST_IJLi12ELi14ELi16ELi18EEEENST_IJLi19EEEENST_IJLi20EEEENST_IJLi22EEEENST_IJLi21EEEEEEENS5_IJNST_IJLi1ELi2ELi3ELi4ELi5EEEES10_S11_S12_S13_S14_NST_IJLi11EEEENST_IJLi12ELi13EEEENST_IJLi14ELi15EEEENST_IJLi16ELi17EEEENST_IJLi18EEEES17_S18_S1A_S19_NST_IJLi23ELi24EEEENST_IJLi25EEEEEEENST_IJLi23ELi25ELi24EEEElEENSB_INS5_IJSR_SP_SP_SR_SG_EEENS5_IJSU_SV_SW_SY_SX_EEENS5_IJNST_IJLi1ELi2EEEESX_SY_NST_IJLi5ELi6EEEES11_EEENST_IJLi5ELi7ELi6EEEElEENSB_INS5_IJSK_SP_SP_EEENS5_IJSU_SV_SW_EEENS5_IJS1P_SX_SY_EEENST_IJLi3ELi4EEEElEELi128ELi128ELi16ELi4ELi4ELi4ELi1ENST_IJLi8ELi2EEEES1Z_NST_IJLi8ELi1ELi1ELi4EEEENST_IJLi2ELi1ELi128ELi1EEEENST_IJLi1ELi2ELi0ELi3EEEES22_NST_IJLi4ELi1ELi1ELi4EEEES22_NST_IJLi1ELi1ELi1ELi4EEEES20_S21_S22_S22_S23_S22_S24_NST_IJLi0ELi1ELi2ELi3ELi4ELi5EEEELi5ELi4EEEaNS5_IJPKaEEEaS8_S8_S9_NSB_INS5_IJSE_SG_SI_SI_SI_SG_SG_SK_SK_SK_SG_SN_SN_SP_SP_SR_SG_SG_NSQ_INS5_IJiNS_17integral_constantIiLi128EEEEEELb0EEENSF_INS2A_IiLi4EEEEEEEENS5_IJSU_SV_SW_SX_SY_SZ_S10_S11_S12_S13_S14_S15_S16_S17_S18_S19_S1A_NST_IJLi23EEEES1J_NST_IJLi24EEEEEEENS5_IJS1C_S10_S11_S12_S13_S14_S1D_S1E_S1F_S1G_S1H_S17_S18_S1A_S19_S1I_S1J_NST_IJLi26EEEENST_IJLi27ELi28EEEENST_IJLi29EEEEEEENST_IJLi26ELi27ELi28ELi29EEEElEENSB_INS5_IJSR_SP_SP_SR_SG_SG_S2D_S2F_EEENS5_IJSU_SV_SW_SY_SX_SZ_S11_S10_EEENS5_IJS1P_SX_SY_S1Q_S11_S12_NST_IJLi9ELi10EEEES1D_EEENST_IJLi8ELi9ELi10ELi11EEEElEENS5_IJNSB_INS5_IJSK_SP_SP_NSQ_INS5_IJiNS2A_IiLi2EEENS2A_IiLi64EEEEEELb0EEES2Z_EEENS5_IJSU_SV_SW_SX_SY_EEENS5_IJS1P_SX_SY_NST_IJLi5ELi6ELi7EEEENST_IJLi8ELi9ELi10EEEEEEENST_IJLi5ELi6ELi7ELi8ELi9ELi10EEEElEEEEES36_NS_31BlockToCTileMap_M00_N00_M01_N01ILi128ELi128ES1Y_Lb0EEENS1_30ComputePtrOffsetOfStridedBatchILi1ELi1ELi1EvEELb1ELb1EEEvPKT0_S3E_T1_PT2_T3_T4_T5_iT6_T7_T8_T9_T10_T11_.uses_vcc, 1
	.set _ZN2ck16tensor_operation6device12_GLOBAL__N_137kernel_grouped_conv_fwd_dl_multiple_dINS_32GridwiseGemmDlMultipleD_km_kn_mnILi256EaiNS_5TupleIJaEEEaNS0_12element_wise11PassThroughES8_NS7_7AddReluELNS_25InMemoryDataOperationEnumE0ENS_16TensorDescriptorINS5_IJNS_5EmbedINS5_IJiiiiiEEESD_Lb0EEENS_11PassThroughIiEENS_3PadIiiiLb0EEESI_SI_SG_SG_NSC_INS5_IJiiEEESJ_Lb0EEESK_SK_SG_NS_23Merge_v2_magic_divisionINS5_IJiiiiEEEEESN_NS_8RightPadIiiLb0EEESP_NS_7UnMergeISJ_Lb0EEESG_EEENS5_IJNS_8SequenceIJLi0EEEENST_IJLi1EEEENST_IJLi2EEEENST_IJLi3EEEENST_IJLi4EEEENST_IJLi5EEEENST_IJLi6EEEENST_IJLi7EEEENST_IJLi8EEEENST_IJLi9EEEENST_IJLi10EEEENST_IJLi11ELi13ELi15ELi17EEEENST_IJLi12ELi14ELi16ELi18EEEENST_IJLi19EEEENST_IJLi20EEEENST_IJLi22EEEENST_IJLi21EEEEEEENS5_IJNST_IJLi1ELi2ELi3ELi4ELi5EEEES10_S11_S12_S13_S14_NST_IJLi11EEEENST_IJLi12ELi13EEEENST_IJLi14ELi15EEEENST_IJLi16ELi17EEEENST_IJLi18EEEES17_S18_S1A_S19_NST_IJLi23ELi24EEEENST_IJLi25EEEEEEENST_IJLi23ELi25ELi24EEEElEENSB_INS5_IJSR_SP_SP_SR_SG_EEENS5_IJSU_SV_SW_SY_SX_EEENS5_IJNST_IJLi1ELi2EEEESX_SY_NST_IJLi5ELi6EEEES11_EEENST_IJLi5ELi7ELi6EEEElEENSB_INS5_IJSK_SP_SP_EEENS5_IJSU_SV_SW_EEENS5_IJS1P_SX_SY_EEENST_IJLi3ELi4EEEElEELi128ELi128ELi16ELi4ELi4ELi4ELi1ENST_IJLi8ELi2EEEES1Z_NST_IJLi8ELi1ELi1ELi4EEEENST_IJLi2ELi1ELi128ELi1EEEENST_IJLi1ELi2ELi0ELi3EEEES22_NST_IJLi4ELi1ELi1ELi4EEEES22_NST_IJLi1ELi1ELi1ELi4EEEES20_S21_S22_S22_S23_S22_S24_NST_IJLi0ELi1ELi2ELi3ELi4ELi5EEEELi5ELi4EEEaNS5_IJPKaEEEaS8_S8_S9_NSB_INS5_IJSE_SG_SI_SI_SI_SG_SG_SK_SK_SK_SG_SN_SN_SP_SP_SR_SG_SG_NSQ_INS5_IJiNS_17integral_constantIiLi128EEEEEELb0EEENSF_INS2A_IiLi4EEEEEEEENS5_IJSU_SV_SW_SX_SY_SZ_S10_S11_S12_S13_S14_S15_S16_S17_S18_S19_S1A_NST_IJLi23EEEES1J_NST_IJLi24EEEEEEENS5_IJS1C_S10_S11_S12_S13_S14_S1D_S1E_S1F_S1G_S1H_S17_S18_S1A_S19_S1I_S1J_NST_IJLi26EEEENST_IJLi27ELi28EEEENST_IJLi29EEEEEEENST_IJLi26ELi27ELi28ELi29EEEElEENSB_INS5_IJSR_SP_SP_SR_SG_SG_S2D_S2F_EEENS5_IJSU_SV_SW_SY_SX_SZ_S11_S10_EEENS5_IJS1P_SX_SY_S1Q_S11_S12_NST_IJLi9ELi10EEEES1D_EEENST_IJLi8ELi9ELi10ELi11EEEElEENS5_IJNSB_INS5_IJSK_SP_SP_NSQ_INS5_IJiNS2A_IiLi2EEENS2A_IiLi64EEEEEELb0EEES2Z_EEENS5_IJSU_SV_SW_SX_SY_EEENS5_IJS1P_SX_SY_NST_IJLi5ELi6ELi7EEEENST_IJLi8ELi9ELi10EEEEEEENST_IJLi5ELi6ELi7ELi8ELi9ELi10EEEElEEEEES36_NS_31BlockToCTileMap_M00_N00_M01_N01ILi128ELi128ES1Y_Lb0EEENS1_30ComputePtrOffsetOfStridedBatchILi1ELi1ELi1EvEELb1ELb1EEEvPKT0_S3E_T1_PT2_T3_T4_T5_iT6_T7_T8_T9_T10_T11_.uses_flat_scratch, 0
	.set _ZN2ck16tensor_operation6device12_GLOBAL__N_137kernel_grouped_conv_fwd_dl_multiple_dINS_32GridwiseGemmDlMultipleD_km_kn_mnILi256EaiNS_5TupleIJaEEEaNS0_12element_wise11PassThroughES8_NS7_7AddReluELNS_25InMemoryDataOperationEnumE0ENS_16TensorDescriptorINS5_IJNS_5EmbedINS5_IJiiiiiEEESD_Lb0EEENS_11PassThroughIiEENS_3PadIiiiLb0EEESI_SI_SG_SG_NSC_INS5_IJiiEEESJ_Lb0EEESK_SK_SG_NS_23Merge_v2_magic_divisionINS5_IJiiiiEEEEESN_NS_8RightPadIiiLb0EEESP_NS_7UnMergeISJ_Lb0EEESG_EEENS5_IJNS_8SequenceIJLi0EEEENST_IJLi1EEEENST_IJLi2EEEENST_IJLi3EEEENST_IJLi4EEEENST_IJLi5EEEENST_IJLi6EEEENST_IJLi7EEEENST_IJLi8EEEENST_IJLi9EEEENST_IJLi10EEEENST_IJLi11ELi13ELi15ELi17EEEENST_IJLi12ELi14ELi16ELi18EEEENST_IJLi19EEEENST_IJLi20EEEENST_IJLi22EEEENST_IJLi21EEEEEEENS5_IJNST_IJLi1ELi2ELi3ELi4ELi5EEEES10_S11_S12_S13_S14_NST_IJLi11EEEENST_IJLi12ELi13EEEENST_IJLi14ELi15EEEENST_IJLi16ELi17EEEENST_IJLi18EEEES17_S18_S1A_S19_NST_IJLi23ELi24EEEENST_IJLi25EEEEEEENST_IJLi23ELi25ELi24EEEElEENSB_INS5_IJSR_SP_SP_SR_SG_EEENS5_IJSU_SV_SW_SY_SX_EEENS5_IJNST_IJLi1ELi2EEEESX_SY_NST_IJLi5ELi6EEEES11_EEENST_IJLi5ELi7ELi6EEEElEENSB_INS5_IJSK_SP_SP_EEENS5_IJSU_SV_SW_EEENS5_IJS1P_SX_SY_EEENST_IJLi3ELi4EEEElEELi128ELi128ELi16ELi4ELi4ELi4ELi1ENST_IJLi8ELi2EEEES1Z_NST_IJLi8ELi1ELi1ELi4EEEENST_IJLi2ELi1ELi128ELi1EEEENST_IJLi1ELi2ELi0ELi3EEEES22_NST_IJLi4ELi1ELi1ELi4EEEES22_NST_IJLi1ELi1ELi1ELi4EEEES20_S21_S22_S22_S23_S22_S24_NST_IJLi0ELi1ELi2ELi3ELi4ELi5EEEELi5ELi4EEEaNS5_IJPKaEEEaS8_S8_S9_NSB_INS5_IJSE_SG_SI_SI_SI_SG_SG_SK_SK_SK_SG_SN_SN_SP_SP_SR_SG_SG_NSQ_INS5_IJiNS_17integral_constantIiLi128EEEEEELb0EEENSF_INS2A_IiLi4EEEEEEEENS5_IJSU_SV_SW_SX_SY_SZ_S10_S11_S12_S13_S14_S15_S16_S17_S18_S19_S1A_NST_IJLi23EEEES1J_NST_IJLi24EEEEEEENS5_IJS1C_S10_S11_S12_S13_S14_S1D_S1E_S1F_S1G_S1H_S17_S18_S1A_S19_S1I_S1J_NST_IJLi26EEEENST_IJLi27ELi28EEEENST_IJLi29EEEEEEENST_IJLi26ELi27ELi28ELi29EEEElEENSB_INS5_IJSR_SP_SP_SR_SG_SG_S2D_S2F_EEENS5_IJSU_SV_SW_SY_SX_SZ_S11_S10_EEENS5_IJS1P_SX_SY_S1Q_S11_S12_NST_IJLi9ELi10EEEES1D_EEENST_IJLi8ELi9ELi10ELi11EEEElEENS5_IJNSB_INS5_IJSK_SP_SP_NSQ_INS5_IJiNS2A_IiLi2EEENS2A_IiLi64EEEEEELb0EEES2Z_EEENS5_IJSU_SV_SW_SX_SY_EEENS5_IJS1P_SX_SY_NST_IJLi5ELi6ELi7EEEENST_IJLi8ELi9ELi10EEEEEEENST_IJLi5ELi6ELi7ELi8ELi9ELi10EEEElEEEEES36_NS_31BlockToCTileMap_M00_N00_M01_N01ILi128ELi128ES1Y_Lb0EEENS1_30ComputePtrOffsetOfStridedBatchILi1ELi1ELi1EvEELb1ELb1EEEvPKT0_S3E_T1_PT2_T3_T4_T5_iT6_T7_T8_T9_T10_T11_.has_dyn_sized_stack, 0
	.set _ZN2ck16tensor_operation6device12_GLOBAL__N_137kernel_grouped_conv_fwd_dl_multiple_dINS_32GridwiseGemmDlMultipleD_km_kn_mnILi256EaiNS_5TupleIJaEEEaNS0_12element_wise11PassThroughES8_NS7_7AddReluELNS_25InMemoryDataOperationEnumE0ENS_16TensorDescriptorINS5_IJNS_5EmbedINS5_IJiiiiiEEESD_Lb0EEENS_11PassThroughIiEENS_3PadIiiiLb0EEESI_SI_SG_SG_NSC_INS5_IJiiEEESJ_Lb0EEESK_SK_SG_NS_23Merge_v2_magic_divisionINS5_IJiiiiEEEEESN_NS_8RightPadIiiLb0EEESP_NS_7UnMergeISJ_Lb0EEESG_EEENS5_IJNS_8SequenceIJLi0EEEENST_IJLi1EEEENST_IJLi2EEEENST_IJLi3EEEENST_IJLi4EEEENST_IJLi5EEEENST_IJLi6EEEENST_IJLi7EEEENST_IJLi8EEEENST_IJLi9EEEENST_IJLi10EEEENST_IJLi11ELi13ELi15ELi17EEEENST_IJLi12ELi14ELi16ELi18EEEENST_IJLi19EEEENST_IJLi20EEEENST_IJLi22EEEENST_IJLi21EEEEEEENS5_IJNST_IJLi1ELi2ELi3ELi4ELi5EEEES10_S11_S12_S13_S14_NST_IJLi11EEEENST_IJLi12ELi13EEEENST_IJLi14ELi15EEEENST_IJLi16ELi17EEEENST_IJLi18EEEES17_S18_S1A_S19_NST_IJLi23ELi24EEEENST_IJLi25EEEEEEENST_IJLi23ELi25ELi24EEEElEENSB_INS5_IJSR_SP_SP_SR_SG_EEENS5_IJSU_SV_SW_SY_SX_EEENS5_IJNST_IJLi1ELi2EEEESX_SY_NST_IJLi5ELi6EEEES11_EEENST_IJLi5ELi7ELi6EEEElEENSB_INS5_IJSK_SP_SP_EEENS5_IJSU_SV_SW_EEENS5_IJS1P_SX_SY_EEENST_IJLi3ELi4EEEElEELi128ELi128ELi16ELi4ELi4ELi4ELi1ENST_IJLi8ELi2EEEES1Z_NST_IJLi8ELi1ELi1ELi4EEEENST_IJLi2ELi1ELi128ELi1EEEENST_IJLi1ELi2ELi0ELi3EEEES22_NST_IJLi4ELi1ELi1ELi4EEEES22_NST_IJLi1ELi1ELi1ELi4EEEES20_S21_S22_S22_S23_S22_S24_NST_IJLi0ELi1ELi2ELi3ELi4ELi5EEEELi5ELi4EEEaNS5_IJPKaEEEaS8_S8_S9_NSB_INS5_IJSE_SG_SI_SI_SI_SG_SG_SK_SK_SK_SG_SN_SN_SP_SP_SR_SG_SG_NSQ_INS5_IJiNS_17integral_constantIiLi128EEEEEELb0EEENSF_INS2A_IiLi4EEEEEEEENS5_IJSU_SV_SW_SX_SY_SZ_S10_S11_S12_S13_S14_S15_S16_S17_S18_S19_S1A_NST_IJLi23EEEES1J_NST_IJLi24EEEEEEENS5_IJS1C_S10_S11_S12_S13_S14_S1D_S1E_S1F_S1G_S1H_S17_S18_S1A_S19_S1I_S1J_NST_IJLi26EEEENST_IJLi27ELi28EEEENST_IJLi29EEEEEEENST_IJLi26ELi27ELi28ELi29EEEElEENSB_INS5_IJSR_SP_SP_SR_SG_SG_S2D_S2F_EEENS5_IJSU_SV_SW_SY_SX_SZ_S11_S10_EEENS5_IJS1P_SX_SY_S1Q_S11_S12_NST_IJLi9ELi10EEEES1D_EEENST_IJLi8ELi9ELi10ELi11EEEElEENS5_IJNSB_INS5_IJSK_SP_SP_NSQ_INS5_IJiNS2A_IiLi2EEENS2A_IiLi64EEEEEELb0EEES2Z_EEENS5_IJSU_SV_SW_SX_SY_EEENS5_IJS1P_SX_SY_NST_IJLi5ELi6ELi7EEEENST_IJLi8ELi9ELi10EEEEEEENST_IJLi5ELi6ELi7ELi8ELi9ELi10EEEElEEEEES36_NS_31BlockToCTileMap_M00_N00_M01_N01ILi128ELi128ES1Y_Lb0EEENS1_30ComputePtrOffsetOfStridedBatchILi1ELi1ELi1EvEELb1ELb1EEEvPKT0_S3E_T1_PT2_T3_T4_T5_iT6_T7_T8_T9_T10_T11_.has_recursion, 0
	.set _ZN2ck16tensor_operation6device12_GLOBAL__N_137kernel_grouped_conv_fwd_dl_multiple_dINS_32GridwiseGemmDlMultipleD_km_kn_mnILi256EaiNS_5TupleIJaEEEaNS0_12element_wise11PassThroughES8_NS7_7AddReluELNS_25InMemoryDataOperationEnumE0ENS_16TensorDescriptorINS5_IJNS_5EmbedINS5_IJiiiiiEEESD_Lb0EEENS_11PassThroughIiEENS_3PadIiiiLb0EEESI_SI_SG_SG_NSC_INS5_IJiiEEESJ_Lb0EEESK_SK_SG_NS_23Merge_v2_magic_divisionINS5_IJiiiiEEEEESN_NS_8RightPadIiiLb0EEESP_NS_7UnMergeISJ_Lb0EEESG_EEENS5_IJNS_8SequenceIJLi0EEEENST_IJLi1EEEENST_IJLi2EEEENST_IJLi3EEEENST_IJLi4EEEENST_IJLi5EEEENST_IJLi6EEEENST_IJLi7EEEENST_IJLi8EEEENST_IJLi9EEEENST_IJLi10EEEENST_IJLi11ELi13ELi15ELi17EEEENST_IJLi12ELi14ELi16ELi18EEEENST_IJLi19EEEENST_IJLi20EEEENST_IJLi22EEEENST_IJLi21EEEEEEENS5_IJNST_IJLi1ELi2ELi3ELi4ELi5EEEES10_S11_S12_S13_S14_NST_IJLi11EEEENST_IJLi12ELi13EEEENST_IJLi14ELi15EEEENST_IJLi16ELi17EEEENST_IJLi18EEEES17_S18_S1A_S19_NST_IJLi23ELi24EEEENST_IJLi25EEEEEEENST_IJLi23ELi25ELi24EEEElEENSB_INS5_IJSR_SP_SP_SR_SG_EEENS5_IJSU_SV_SW_SY_SX_EEENS5_IJNST_IJLi1ELi2EEEESX_SY_NST_IJLi5ELi6EEEES11_EEENST_IJLi5ELi7ELi6EEEElEENSB_INS5_IJSK_SP_SP_EEENS5_IJSU_SV_SW_EEENS5_IJS1P_SX_SY_EEENST_IJLi3ELi4EEEElEELi128ELi128ELi16ELi4ELi4ELi4ELi1ENST_IJLi8ELi2EEEES1Z_NST_IJLi8ELi1ELi1ELi4EEEENST_IJLi2ELi1ELi128ELi1EEEENST_IJLi1ELi2ELi0ELi3EEEES22_NST_IJLi4ELi1ELi1ELi4EEEES22_NST_IJLi1ELi1ELi1ELi4EEEES20_S21_S22_S22_S23_S22_S24_NST_IJLi0ELi1ELi2ELi3ELi4ELi5EEEELi5ELi4EEEaNS5_IJPKaEEEaS8_S8_S9_NSB_INS5_IJSE_SG_SI_SI_SI_SG_SG_SK_SK_SK_SG_SN_SN_SP_SP_SR_SG_SG_NSQ_INS5_IJiNS_17integral_constantIiLi128EEEEEELb0EEENSF_INS2A_IiLi4EEEEEEEENS5_IJSU_SV_SW_SX_SY_SZ_S10_S11_S12_S13_S14_S15_S16_S17_S18_S19_S1A_NST_IJLi23EEEES1J_NST_IJLi24EEEEEEENS5_IJS1C_S10_S11_S12_S13_S14_S1D_S1E_S1F_S1G_S1H_S17_S18_S1A_S19_S1I_S1J_NST_IJLi26EEEENST_IJLi27ELi28EEEENST_IJLi29EEEEEEENST_IJLi26ELi27ELi28ELi29EEEElEENSB_INS5_IJSR_SP_SP_SR_SG_SG_S2D_S2F_EEENS5_IJSU_SV_SW_SY_SX_SZ_S11_S10_EEENS5_IJS1P_SX_SY_S1Q_S11_S12_NST_IJLi9ELi10EEEES1D_EEENST_IJLi8ELi9ELi10ELi11EEEElEENS5_IJNSB_INS5_IJSK_SP_SP_NSQ_INS5_IJiNS2A_IiLi2EEENS2A_IiLi64EEEEEELb0EEES2Z_EEENS5_IJSU_SV_SW_SX_SY_EEENS5_IJS1P_SX_SY_NST_IJLi5ELi6ELi7EEEENST_IJLi8ELi9ELi10EEEEEEENST_IJLi5ELi6ELi7ELi8ELi9ELi10EEEElEEEEES36_NS_31BlockToCTileMap_M00_N00_M01_N01ILi128ELi128ES1Y_Lb0EEENS1_30ComputePtrOffsetOfStridedBatchILi1ELi1ELi1EvEELb1ELb1EEEvPKT0_S3E_T1_PT2_T3_T4_T5_iT6_T7_T8_T9_T10_T11_.has_indirect_call, 0
	.section	.AMDGPU.csdata,"",@progbits
; Kernel info:
; codeLenInByte = 44536
; TotalNumSgprs: 86
; NumVgprs: 202
; ScratchSize: 0
; MemoryBound: 0
; FloatMode: 240
; IeeeMode: 1
; LDSByteSize: 32768 bytes/workgroup (compile time only)
; SGPRBlocks: 0
; VGPRBlocks: 25
; NumSGPRsForWavesPerEU: 86
; NumVGPRsForWavesPerEU: 202
; Occupancy: 7
; WaveLimiterHint : 0
; COMPUTE_PGM_RSRC2:SCRATCH_EN: 0
; COMPUTE_PGM_RSRC2:USER_SGPR: 2
; COMPUTE_PGM_RSRC2:TRAP_HANDLER: 0
; COMPUTE_PGM_RSRC2:TGID_X_EN: 1
; COMPUTE_PGM_RSRC2:TGID_Y_EN: 0
; COMPUTE_PGM_RSRC2:TGID_Z_EN: 0
; COMPUTE_PGM_RSRC2:TIDIG_COMP_CNT: 0
	.section	.text._ZN2ck16tensor_operation6device12_GLOBAL__N_137kernel_grouped_conv_fwd_dl_multiple_dINS_32GridwiseGemmDlMultipleD_km_kn_mnILi256EaiNS_5TupleIJaEEEaNS0_12element_wise11PassThroughES8_NS7_7AddReluELNS_25InMemoryDataOperationEnumE0ENS_16TensorDescriptorINS5_IJNS_5EmbedINS5_IJiiiiiEEESD_Lb0EEENS_11PassThroughIiEENS_3PadIiiiLb0EEESI_SI_SG_SG_NSC_INS5_IJiiEEESJ_Lb0EEESK_SK_SG_NS_23Merge_v2_magic_divisionINS5_IJiiiiEEEEESN_NS_8RightPadIiiLb0EEESP_NS_7UnMergeISJ_Lb0EEESG_EEENS5_IJNS_8SequenceIJLi0EEEENST_IJLi1EEEENST_IJLi2EEEENST_IJLi3EEEENST_IJLi4EEEENST_IJLi5EEEENST_IJLi6EEEENST_IJLi7EEEENST_IJLi8EEEENST_IJLi9EEEENST_IJLi10EEEENST_IJLi11ELi13ELi15ELi17EEEENST_IJLi12ELi14ELi16ELi18EEEENST_IJLi19EEEENST_IJLi20EEEENST_IJLi22EEEENST_IJLi21EEEEEEENS5_IJNST_IJLi1ELi2ELi3ELi4ELi5EEEES10_S11_S12_S13_S14_NST_IJLi11EEEENST_IJLi12ELi13EEEENST_IJLi14ELi15EEEENST_IJLi16ELi17EEEENST_IJLi18EEEES17_S18_S1A_S19_NST_IJLi23ELi24EEEENST_IJLi25EEEEEEENST_IJLi23ELi25ELi24EEEElEENSB_INS5_IJSR_SP_SP_SR_SG_EEENS5_IJSU_SV_SW_SY_SX_EEENS5_IJNST_IJLi1ELi2EEEESX_SY_NST_IJLi5ELi6EEEES11_EEENST_IJLi5ELi7ELi6EEEElEENSB_INS5_IJSK_SP_SP_EEENS5_IJSU_SV_SW_EEENS5_IJS1P_SX_SY_EEENST_IJLi3ELi4EEEElEELi128ELi128ELi16ELi4ELi4ELi4ELi1ENST_IJLi8ELi2EEEES1Z_NST_IJLi8ELi1ELi1ELi4EEEENST_IJLi2ELi1ELi128ELi1EEEENST_IJLi1ELi2ELi0ELi3EEEES22_NST_IJLi4ELi1ELi1ELi4EEEES22_NST_IJLi1ELi1ELi1ELi4EEEES20_S21_S22_S22_S23_S22_S24_NST_IJLi0ELi1ELi2ELi3ELi4ELi5EEEELi5ELi4EEEaNS5_IJPKaEEEaS8_S8_S9_NSB_INS5_IJSE_SG_SI_SI_SI_SG_SG_SK_SK_SK_SG_SN_SN_SP_SP_SR_SG_SG_NSQ_INS5_IJiNS_17integral_constantIiLi128EEEEEELb0EEENSF_INS2A_IiLi4EEEEEEEENS5_IJSU_SV_SW_SX_SY_SZ_S10_S11_S12_S13_S14_S15_S16_S17_S18_S19_S1A_NST_IJLi23EEEES1J_NST_IJLi24EEEEEEENS5_IJS1C_S10_S11_S12_S13_S14_S1D_S1E_S1F_S1G_S1H_S17_S18_S1A_S19_S1I_S1J_NST_IJLi26EEEENST_IJLi27ELi28EEEENST_IJLi29EEEEEEENST_IJLi26ELi27ELi28ELi29EEEElEENSB_INS5_IJSR_SP_SP_SR_SG_SG_S2D_S2F_EEENS5_IJSU_SV_SW_SY_SX_SZ_S11_S10_EEENS5_IJS1P_SX_SY_S1Q_S11_S12_NST_IJLi9ELi10EEEES1D_EEENST_IJLi8ELi9ELi10ELi11EEEElEENS5_IJNSB_INS5_IJSK_SP_SP_NSQ_INS5_IJiNS2A_IiLi2EEENS2A_IiLi64EEEEEELb0EEES2Z_EEENS5_IJSU_SV_SW_SX_SY_EEENS5_IJS1P_SX_SY_NST_IJLi5ELi6ELi7EEEENST_IJLi8ELi9ELi10EEEEEEENST_IJLi5ELi6ELi7ELi8ELi9ELi10EEEElEEEEES36_NS_31BlockToCTileMap_M00_N00_M01_N01ILi128ELi128ES1Y_Lb0EEENS1_30ComputePtrOffsetOfStridedBatchILi1ELi1ELi1EvEELb1ELb0EEEvPKT0_S3E_T1_PT2_T3_T4_T5_iT6_T7_T8_T9_T10_T11_,"axG",@progbits,_ZN2ck16tensor_operation6device12_GLOBAL__N_137kernel_grouped_conv_fwd_dl_multiple_dINS_32GridwiseGemmDlMultipleD_km_kn_mnILi256EaiNS_5TupleIJaEEEaNS0_12element_wise11PassThroughES8_NS7_7AddReluELNS_25InMemoryDataOperationEnumE0ENS_16TensorDescriptorINS5_IJNS_5EmbedINS5_IJiiiiiEEESD_Lb0EEENS_11PassThroughIiEENS_3PadIiiiLb0EEESI_SI_SG_SG_NSC_INS5_IJiiEEESJ_Lb0EEESK_SK_SG_NS_23Merge_v2_magic_divisionINS5_IJiiiiEEEEESN_NS_8RightPadIiiLb0EEESP_NS_7UnMergeISJ_Lb0EEESG_EEENS5_IJNS_8SequenceIJLi0EEEENST_IJLi1EEEENST_IJLi2EEEENST_IJLi3EEEENST_IJLi4EEEENST_IJLi5EEEENST_IJLi6EEEENST_IJLi7EEEENST_IJLi8EEEENST_IJLi9EEEENST_IJLi10EEEENST_IJLi11ELi13ELi15ELi17EEEENST_IJLi12ELi14ELi16ELi18EEEENST_IJLi19EEEENST_IJLi20EEEENST_IJLi22EEEENST_IJLi21EEEEEEENS5_IJNST_IJLi1ELi2ELi3ELi4ELi5EEEES10_S11_S12_S13_S14_NST_IJLi11EEEENST_IJLi12ELi13EEEENST_IJLi14ELi15EEEENST_IJLi16ELi17EEEENST_IJLi18EEEES17_S18_S1A_S19_NST_IJLi23ELi24EEEENST_IJLi25EEEEEEENST_IJLi23ELi25ELi24EEEElEENSB_INS5_IJSR_SP_SP_SR_SG_EEENS5_IJSU_SV_SW_SY_SX_EEENS5_IJNST_IJLi1ELi2EEEESX_SY_NST_IJLi5ELi6EEEES11_EEENST_IJLi5ELi7ELi6EEEElEENSB_INS5_IJSK_SP_SP_EEENS5_IJSU_SV_SW_EEENS5_IJS1P_SX_SY_EEENST_IJLi3ELi4EEEElEELi128ELi128ELi16ELi4ELi4ELi4ELi1ENST_IJLi8ELi2EEEES1Z_NST_IJLi8ELi1ELi1ELi4EEEENST_IJLi2ELi1ELi128ELi1EEEENST_IJLi1ELi2ELi0ELi3EEEES22_NST_IJLi4ELi1ELi1ELi4EEEES22_NST_IJLi1ELi1ELi1ELi4EEEES20_S21_S22_S22_S23_S22_S24_NST_IJLi0ELi1ELi2ELi3ELi4ELi5EEEELi5ELi4EEEaNS5_IJPKaEEEaS8_S8_S9_NSB_INS5_IJSE_SG_SI_SI_SI_SG_SG_SK_SK_SK_SG_SN_SN_SP_SP_SR_SG_SG_NSQ_INS5_IJiNS_17integral_constantIiLi128EEEEEELb0EEENSF_INS2A_IiLi4EEEEEEEENS5_IJSU_SV_SW_SX_SY_SZ_S10_S11_S12_S13_S14_S15_S16_S17_S18_S19_S1A_NST_IJLi23EEEES1J_NST_IJLi24EEEEEEENS5_IJS1C_S10_S11_S12_S13_S14_S1D_S1E_S1F_S1G_S1H_S17_S18_S1A_S19_S1I_S1J_NST_IJLi26EEEENST_IJLi27ELi28EEEENST_IJLi29EEEEEEENST_IJLi26ELi27ELi28ELi29EEEElEENSB_INS5_IJSR_SP_SP_SR_SG_SG_S2D_S2F_EEENS5_IJSU_SV_SW_SY_SX_SZ_S11_S10_EEENS5_IJS1P_SX_SY_S1Q_S11_S12_NST_IJLi9ELi10EEEES1D_EEENST_IJLi8ELi9ELi10ELi11EEEElEENS5_IJNSB_INS5_IJSK_SP_SP_NSQ_INS5_IJiNS2A_IiLi2EEENS2A_IiLi64EEEEEELb0EEES2Z_EEENS5_IJSU_SV_SW_SX_SY_EEENS5_IJS1P_SX_SY_NST_IJLi5ELi6ELi7EEEENST_IJLi8ELi9ELi10EEEEEEENST_IJLi5ELi6ELi7ELi8ELi9ELi10EEEElEEEEES36_NS_31BlockToCTileMap_M00_N00_M01_N01ILi128ELi128ES1Y_Lb0EEENS1_30ComputePtrOffsetOfStridedBatchILi1ELi1ELi1EvEELb1ELb0EEEvPKT0_S3E_T1_PT2_T3_T4_T5_iT6_T7_T8_T9_T10_T11_,comdat
	.globl	_ZN2ck16tensor_operation6device12_GLOBAL__N_137kernel_grouped_conv_fwd_dl_multiple_dINS_32GridwiseGemmDlMultipleD_km_kn_mnILi256EaiNS_5TupleIJaEEEaNS0_12element_wise11PassThroughES8_NS7_7AddReluELNS_25InMemoryDataOperationEnumE0ENS_16TensorDescriptorINS5_IJNS_5EmbedINS5_IJiiiiiEEESD_Lb0EEENS_11PassThroughIiEENS_3PadIiiiLb0EEESI_SI_SG_SG_NSC_INS5_IJiiEEESJ_Lb0EEESK_SK_SG_NS_23Merge_v2_magic_divisionINS5_IJiiiiEEEEESN_NS_8RightPadIiiLb0EEESP_NS_7UnMergeISJ_Lb0EEESG_EEENS5_IJNS_8SequenceIJLi0EEEENST_IJLi1EEEENST_IJLi2EEEENST_IJLi3EEEENST_IJLi4EEEENST_IJLi5EEEENST_IJLi6EEEENST_IJLi7EEEENST_IJLi8EEEENST_IJLi9EEEENST_IJLi10EEEENST_IJLi11ELi13ELi15ELi17EEEENST_IJLi12ELi14ELi16ELi18EEEENST_IJLi19EEEENST_IJLi20EEEENST_IJLi22EEEENST_IJLi21EEEEEEENS5_IJNST_IJLi1ELi2ELi3ELi4ELi5EEEES10_S11_S12_S13_S14_NST_IJLi11EEEENST_IJLi12ELi13EEEENST_IJLi14ELi15EEEENST_IJLi16ELi17EEEENST_IJLi18EEEES17_S18_S1A_S19_NST_IJLi23ELi24EEEENST_IJLi25EEEEEEENST_IJLi23ELi25ELi24EEEElEENSB_INS5_IJSR_SP_SP_SR_SG_EEENS5_IJSU_SV_SW_SY_SX_EEENS5_IJNST_IJLi1ELi2EEEESX_SY_NST_IJLi5ELi6EEEES11_EEENST_IJLi5ELi7ELi6EEEElEENSB_INS5_IJSK_SP_SP_EEENS5_IJSU_SV_SW_EEENS5_IJS1P_SX_SY_EEENST_IJLi3ELi4EEEElEELi128ELi128ELi16ELi4ELi4ELi4ELi1ENST_IJLi8ELi2EEEES1Z_NST_IJLi8ELi1ELi1ELi4EEEENST_IJLi2ELi1ELi128ELi1EEEENST_IJLi1ELi2ELi0ELi3EEEES22_NST_IJLi4ELi1ELi1ELi4EEEES22_NST_IJLi1ELi1ELi1ELi4EEEES20_S21_S22_S22_S23_S22_S24_NST_IJLi0ELi1ELi2ELi3ELi4ELi5EEEELi5ELi4EEEaNS5_IJPKaEEEaS8_S8_S9_NSB_INS5_IJSE_SG_SI_SI_SI_SG_SG_SK_SK_SK_SG_SN_SN_SP_SP_SR_SG_SG_NSQ_INS5_IJiNS_17integral_constantIiLi128EEEEEELb0EEENSF_INS2A_IiLi4EEEEEEEENS5_IJSU_SV_SW_SX_SY_SZ_S10_S11_S12_S13_S14_S15_S16_S17_S18_S19_S1A_NST_IJLi23EEEES1J_NST_IJLi24EEEEEEENS5_IJS1C_S10_S11_S12_S13_S14_S1D_S1E_S1F_S1G_S1H_S17_S18_S1A_S19_S1I_S1J_NST_IJLi26EEEENST_IJLi27ELi28EEEENST_IJLi29EEEEEEENST_IJLi26ELi27ELi28ELi29EEEElEENSB_INS5_IJSR_SP_SP_SR_SG_SG_S2D_S2F_EEENS5_IJSU_SV_SW_SY_SX_SZ_S11_S10_EEENS5_IJS1P_SX_SY_S1Q_S11_S12_NST_IJLi9ELi10EEEES1D_EEENST_IJLi8ELi9ELi10ELi11EEEElEENS5_IJNSB_INS5_IJSK_SP_SP_NSQ_INS5_IJiNS2A_IiLi2EEENS2A_IiLi64EEEEEELb0EEES2Z_EEENS5_IJSU_SV_SW_SX_SY_EEENS5_IJS1P_SX_SY_NST_IJLi5ELi6ELi7EEEENST_IJLi8ELi9ELi10EEEEEEENST_IJLi5ELi6ELi7ELi8ELi9ELi10EEEElEEEEES36_NS_31BlockToCTileMap_M00_N00_M01_N01ILi128ELi128ES1Y_Lb0EEENS1_30ComputePtrOffsetOfStridedBatchILi1ELi1ELi1EvEELb1ELb0EEEvPKT0_S3E_T1_PT2_T3_T4_T5_iT6_T7_T8_T9_T10_T11_ ; -- Begin function _ZN2ck16tensor_operation6device12_GLOBAL__N_137kernel_grouped_conv_fwd_dl_multiple_dINS_32GridwiseGemmDlMultipleD_km_kn_mnILi256EaiNS_5TupleIJaEEEaNS0_12element_wise11PassThroughES8_NS7_7AddReluELNS_25InMemoryDataOperationEnumE0ENS_16TensorDescriptorINS5_IJNS_5EmbedINS5_IJiiiiiEEESD_Lb0EEENS_11PassThroughIiEENS_3PadIiiiLb0EEESI_SI_SG_SG_NSC_INS5_IJiiEEESJ_Lb0EEESK_SK_SG_NS_23Merge_v2_magic_divisionINS5_IJiiiiEEEEESN_NS_8RightPadIiiLb0EEESP_NS_7UnMergeISJ_Lb0EEESG_EEENS5_IJNS_8SequenceIJLi0EEEENST_IJLi1EEEENST_IJLi2EEEENST_IJLi3EEEENST_IJLi4EEEENST_IJLi5EEEENST_IJLi6EEEENST_IJLi7EEEENST_IJLi8EEEENST_IJLi9EEEENST_IJLi10EEEENST_IJLi11ELi13ELi15ELi17EEEENST_IJLi12ELi14ELi16ELi18EEEENST_IJLi19EEEENST_IJLi20EEEENST_IJLi22EEEENST_IJLi21EEEEEEENS5_IJNST_IJLi1ELi2ELi3ELi4ELi5EEEES10_S11_S12_S13_S14_NST_IJLi11EEEENST_IJLi12ELi13EEEENST_IJLi14ELi15EEEENST_IJLi16ELi17EEEENST_IJLi18EEEES17_S18_S1A_S19_NST_IJLi23ELi24EEEENST_IJLi25EEEEEEENST_IJLi23ELi25ELi24EEEElEENSB_INS5_IJSR_SP_SP_SR_SG_EEENS5_IJSU_SV_SW_SY_SX_EEENS5_IJNST_IJLi1ELi2EEEESX_SY_NST_IJLi5ELi6EEEES11_EEENST_IJLi5ELi7ELi6EEEElEENSB_INS5_IJSK_SP_SP_EEENS5_IJSU_SV_SW_EEENS5_IJS1P_SX_SY_EEENST_IJLi3ELi4EEEElEELi128ELi128ELi16ELi4ELi4ELi4ELi1ENST_IJLi8ELi2EEEES1Z_NST_IJLi8ELi1ELi1ELi4EEEENST_IJLi2ELi1ELi128ELi1EEEENST_IJLi1ELi2ELi0ELi3EEEES22_NST_IJLi4ELi1ELi1ELi4EEEES22_NST_IJLi1ELi1ELi1ELi4EEEES20_S21_S22_S22_S23_S22_S24_NST_IJLi0ELi1ELi2ELi3ELi4ELi5EEEELi5ELi4EEEaNS5_IJPKaEEEaS8_S8_S9_NSB_INS5_IJSE_SG_SI_SI_SI_SG_SG_SK_SK_SK_SG_SN_SN_SP_SP_SR_SG_SG_NSQ_INS5_IJiNS_17integral_constantIiLi128EEEEEELb0EEENSF_INS2A_IiLi4EEEEEEEENS5_IJSU_SV_SW_SX_SY_SZ_S10_S11_S12_S13_S14_S15_S16_S17_S18_S19_S1A_NST_IJLi23EEEES1J_NST_IJLi24EEEEEEENS5_IJS1C_S10_S11_S12_S13_S14_S1D_S1E_S1F_S1G_S1H_S17_S18_S1A_S19_S1I_S1J_NST_IJLi26EEEENST_IJLi27ELi28EEEENST_IJLi29EEEEEEENST_IJLi26ELi27ELi28ELi29EEEElEENSB_INS5_IJSR_SP_SP_SR_SG_SG_S2D_S2F_EEENS5_IJSU_SV_SW_SY_SX_SZ_S11_S10_EEENS5_IJS1P_SX_SY_S1Q_S11_S12_NST_IJLi9ELi10EEEES1D_EEENST_IJLi8ELi9ELi10ELi11EEEElEENS5_IJNSB_INS5_IJSK_SP_SP_NSQ_INS5_IJiNS2A_IiLi2EEENS2A_IiLi64EEEEEELb0EEES2Z_EEENS5_IJSU_SV_SW_SX_SY_EEENS5_IJS1P_SX_SY_NST_IJLi5ELi6ELi7EEEENST_IJLi8ELi9ELi10EEEEEEENST_IJLi5ELi6ELi7ELi8ELi9ELi10EEEElEEEEES36_NS_31BlockToCTileMap_M00_N00_M01_N01ILi128ELi128ES1Y_Lb0EEENS1_30ComputePtrOffsetOfStridedBatchILi1ELi1ELi1EvEELb1ELb0EEEvPKT0_S3E_T1_PT2_T3_T4_T5_iT6_T7_T8_T9_T10_T11_
	.p2align	8
	.type	_ZN2ck16tensor_operation6device12_GLOBAL__N_137kernel_grouped_conv_fwd_dl_multiple_dINS_32GridwiseGemmDlMultipleD_km_kn_mnILi256EaiNS_5TupleIJaEEEaNS0_12element_wise11PassThroughES8_NS7_7AddReluELNS_25InMemoryDataOperationEnumE0ENS_16TensorDescriptorINS5_IJNS_5EmbedINS5_IJiiiiiEEESD_Lb0EEENS_11PassThroughIiEENS_3PadIiiiLb0EEESI_SI_SG_SG_NSC_INS5_IJiiEEESJ_Lb0EEESK_SK_SG_NS_23Merge_v2_magic_divisionINS5_IJiiiiEEEEESN_NS_8RightPadIiiLb0EEESP_NS_7UnMergeISJ_Lb0EEESG_EEENS5_IJNS_8SequenceIJLi0EEEENST_IJLi1EEEENST_IJLi2EEEENST_IJLi3EEEENST_IJLi4EEEENST_IJLi5EEEENST_IJLi6EEEENST_IJLi7EEEENST_IJLi8EEEENST_IJLi9EEEENST_IJLi10EEEENST_IJLi11ELi13ELi15ELi17EEEENST_IJLi12ELi14ELi16ELi18EEEENST_IJLi19EEEENST_IJLi20EEEENST_IJLi22EEEENST_IJLi21EEEEEEENS5_IJNST_IJLi1ELi2ELi3ELi4ELi5EEEES10_S11_S12_S13_S14_NST_IJLi11EEEENST_IJLi12ELi13EEEENST_IJLi14ELi15EEEENST_IJLi16ELi17EEEENST_IJLi18EEEES17_S18_S1A_S19_NST_IJLi23ELi24EEEENST_IJLi25EEEEEEENST_IJLi23ELi25ELi24EEEElEENSB_INS5_IJSR_SP_SP_SR_SG_EEENS5_IJSU_SV_SW_SY_SX_EEENS5_IJNST_IJLi1ELi2EEEESX_SY_NST_IJLi5ELi6EEEES11_EEENST_IJLi5ELi7ELi6EEEElEENSB_INS5_IJSK_SP_SP_EEENS5_IJSU_SV_SW_EEENS5_IJS1P_SX_SY_EEENST_IJLi3ELi4EEEElEELi128ELi128ELi16ELi4ELi4ELi4ELi1ENST_IJLi8ELi2EEEES1Z_NST_IJLi8ELi1ELi1ELi4EEEENST_IJLi2ELi1ELi128ELi1EEEENST_IJLi1ELi2ELi0ELi3EEEES22_NST_IJLi4ELi1ELi1ELi4EEEES22_NST_IJLi1ELi1ELi1ELi4EEEES20_S21_S22_S22_S23_S22_S24_NST_IJLi0ELi1ELi2ELi3ELi4ELi5EEEELi5ELi4EEEaNS5_IJPKaEEEaS8_S8_S9_NSB_INS5_IJSE_SG_SI_SI_SI_SG_SG_SK_SK_SK_SG_SN_SN_SP_SP_SR_SG_SG_NSQ_INS5_IJiNS_17integral_constantIiLi128EEEEEELb0EEENSF_INS2A_IiLi4EEEEEEEENS5_IJSU_SV_SW_SX_SY_SZ_S10_S11_S12_S13_S14_S15_S16_S17_S18_S19_S1A_NST_IJLi23EEEES1J_NST_IJLi24EEEEEEENS5_IJS1C_S10_S11_S12_S13_S14_S1D_S1E_S1F_S1G_S1H_S17_S18_S1A_S19_S1I_S1J_NST_IJLi26EEEENST_IJLi27ELi28EEEENST_IJLi29EEEEEEENST_IJLi26ELi27ELi28ELi29EEEElEENSB_INS5_IJSR_SP_SP_SR_SG_SG_S2D_S2F_EEENS5_IJSU_SV_SW_SY_SX_SZ_S11_S10_EEENS5_IJS1P_SX_SY_S1Q_S11_S12_NST_IJLi9ELi10EEEES1D_EEENST_IJLi8ELi9ELi10ELi11EEEElEENS5_IJNSB_INS5_IJSK_SP_SP_NSQ_INS5_IJiNS2A_IiLi2EEENS2A_IiLi64EEEEEELb0EEES2Z_EEENS5_IJSU_SV_SW_SX_SY_EEENS5_IJS1P_SX_SY_NST_IJLi5ELi6ELi7EEEENST_IJLi8ELi9ELi10EEEEEEENST_IJLi5ELi6ELi7ELi8ELi9ELi10EEEElEEEEES36_NS_31BlockToCTileMap_M00_N00_M01_N01ILi128ELi128ES1Y_Lb0EEENS1_30ComputePtrOffsetOfStridedBatchILi1ELi1ELi1EvEELb1ELb0EEEvPKT0_S3E_T1_PT2_T3_T4_T5_iT6_T7_T8_T9_T10_T11_,@function
_ZN2ck16tensor_operation6device12_GLOBAL__N_137kernel_grouped_conv_fwd_dl_multiple_dINS_32GridwiseGemmDlMultipleD_km_kn_mnILi256EaiNS_5TupleIJaEEEaNS0_12element_wise11PassThroughES8_NS7_7AddReluELNS_25InMemoryDataOperationEnumE0ENS_16TensorDescriptorINS5_IJNS_5EmbedINS5_IJiiiiiEEESD_Lb0EEENS_11PassThroughIiEENS_3PadIiiiLb0EEESI_SI_SG_SG_NSC_INS5_IJiiEEESJ_Lb0EEESK_SK_SG_NS_23Merge_v2_magic_divisionINS5_IJiiiiEEEEESN_NS_8RightPadIiiLb0EEESP_NS_7UnMergeISJ_Lb0EEESG_EEENS5_IJNS_8SequenceIJLi0EEEENST_IJLi1EEEENST_IJLi2EEEENST_IJLi3EEEENST_IJLi4EEEENST_IJLi5EEEENST_IJLi6EEEENST_IJLi7EEEENST_IJLi8EEEENST_IJLi9EEEENST_IJLi10EEEENST_IJLi11ELi13ELi15ELi17EEEENST_IJLi12ELi14ELi16ELi18EEEENST_IJLi19EEEENST_IJLi20EEEENST_IJLi22EEEENST_IJLi21EEEEEEENS5_IJNST_IJLi1ELi2ELi3ELi4ELi5EEEES10_S11_S12_S13_S14_NST_IJLi11EEEENST_IJLi12ELi13EEEENST_IJLi14ELi15EEEENST_IJLi16ELi17EEEENST_IJLi18EEEES17_S18_S1A_S19_NST_IJLi23ELi24EEEENST_IJLi25EEEEEEENST_IJLi23ELi25ELi24EEEElEENSB_INS5_IJSR_SP_SP_SR_SG_EEENS5_IJSU_SV_SW_SY_SX_EEENS5_IJNST_IJLi1ELi2EEEESX_SY_NST_IJLi5ELi6EEEES11_EEENST_IJLi5ELi7ELi6EEEElEENSB_INS5_IJSK_SP_SP_EEENS5_IJSU_SV_SW_EEENS5_IJS1P_SX_SY_EEENST_IJLi3ELi4EEEElEELi128ELi128ELi16ELi4ELi4ELi4ELi1ENST_IJLi8ELi2EEEES1Z_NST_IJLi8ELi1ELi1ELi4EEEENST_IJLi2ELi1ELi128ELi1EEEENST_IJLi1ELi2ELi0ELi3EEEES22_NST_IJLi4ELi1ELi1ELi4EEEES22_NST_IJLi1ELi1ELi1ELi4EEEES20_S21_S22_S22_S23_S22_S24_NST_IJLi0ELi1ELi2ELi3ELi4ELi5EEEELi5ELi4EEEaNS5_IJPKaEEEaS8_S8_S9_NSB_INS5_IJSE_SG_SI_SI_SI_SG_SG_SK_SK_SK_SG_SN_SN_SP_SP_SR_SG_SG_NSQ_INS5_IJiNS_17integral_constantIiLi128EEEEEELb0EEENSF_INS2A_IiLi4EEEEEEEENS5_IJSU_SV_SW_SX_SY_SZ_S10_S11_S12_S13_S14_S15_S16_S17_S18_S19_S1A_NST_IJLi23EEEES1J_NST_IJLi24EEEEEEENS5_IJS1C_S10_S11_S12_S13_S14_S1D_S1E_S1F_S1G_S1H_S17_S18_S1A_S19_S1I_S1J_NST_IJLi26EEEENST_IJLi27ELi28EEEENST_IJLi29EEEEEEENST_IJLi26ELi27ELi28ELi29EEEElEENSB_INS5_IJSR_SP_SP_SR_SG_SG_S2D_S2F_EEENS5_IJSU_SV_SW_SY_SX_SZ_S11_S10_EEENS5_IJS1P_SX_SY_S1Q_S11_S12_NST_IJLi9ELi10EEEES1D_EEENST_IJLi8ELi9ELi10ELi11EEEElEENS5_IJNSB_INS5_IJSK_SP_SP_NSQ_INS5_IJiNS2A_IiLi2EEENS2A_IiLi64EEEEEELb0EEES2Z_EEENS5_IJSU_SV_SW_SX_SY_EEENS5_IJS1P_SX_SY_NST_IJLi5ELi6ELi7EEEENST_IJLi8ELi9ELi10EEEEEEENST_IJLi5ELi6ELi7ELi8ELi9ELi10EEEElEEEEES36_NS_31BlockToCTileMap_M00_N00_M01_N01ILi128ELi128ES1Y_Lb0EEENS1_30ComputePtrOffsetOfStridedBatchILi1ELi1ELi1EvEELb1ELb0EEEvPKT0_S3E_T1_PT2_T3_T4_T5_iT6_T7_T8_T9_T10_T11_: ; @_ZN2ck16tensor_operation6device12_GLOBAL__N_137kernel_grouped_conv_fwd_dl_multiple_dINS_32GridwiseGemmDlMultipleD_km_kn_mnILi256EaiNS_5TupleIJaEEEaNS0_12element_wise11PassThroughES8_NS7_7AddReluELNS_25InMemoryDataOperationEnumE0ENS_16TensorDescriptorINS5_IJNS_5EmbedINS5_IJiiiiiEEESD_Lb0EEENS_11PassThroughIiEENS_3PadIiiiLb0EEESI_SI_SG_SG_NSC_INS5_IJiiEEESJ_Lb0EEESK_SK_SG_NS_23Merge_v2_magic_divisionINS5_IJiiiiEEEEESN_NS_8RightPadIiiLb0EEESP_NS_7UnMergeISJ_Lb0EEESG_EEENS5_IJNS_8SequenceIJLi0EEEENST_IJLi1EEEENST_IJLi2EEEENST_IJLi3EEEENST_IJLi4EEEENST_IJLi5EEEENST_IJLi6EEEENST_IJLi7EEEENST_IJLi8EEEENST_IJLi9EEEENST_IJLi10EEEENST_IJLi11ELi13ELi15ELi17EEEENST_IJLi12ELi14ELi16ELi18EEEENST_IJLi19EEEENST_IJLi20EEEENST_IJLi22EEEENST_IJLi21EEEEEEENS5_IJNST_IJLi1ELi2ELi3ELi4ELi5EEEES10_S11_S12_S13_S14_NST_IJLi11EEEENST_IJLi12ELi13EEEENST_IJLi14ELi15EEEENST_IJLi16ELi17EEEENST_IJLi18EEEES17_S18_S1A_S19_NST_IJLi23ELi24EEEENST_IJLi25EEEEEEENST_IJLi23ELi25ELi24EEEElEENSB_INS5_IJSR_SP_SP_SR_SG_EEENS5_IJSU_SV_SW_SY_SX_EEENS5_IJNST_IJLi1ELi2EEEESX_SY_NST_IJLi5ELi6EEEES11_EEENST_IJLi5ELi7ELi6EEEElEENSB_INS5_IJSK_SP_SP_EEENS5_IJSU_SV_SW_EEENS5_IJS1P_SX_SY_EEENST_IJLi3ELi4EEEElEELi128ELi128ELi16ELi4ELi4ELi4ELi1ENST_IJLi8ELi2EEEES1Z_NST_IJLi8ELi1ELi1ELi4EEEENST_IJLi2ELi1ELi128ELi1EEEENST_IJLi1ELi2ELi0ELi3EEEES22_NST_IJLi4ELi1ELi1ELi4EEEES22_NST_IJLi1ELi1ELi1ELi4EEEES20_S21_S22_S22_S23_S22_S24_NST_IJLi0ELi1ELi2ELi3ELi4ELi5EEEELi5ELi4EEEaNS5_IJPKaEEEaS8_S8_S9_NSB_INS5_IJSE_SG_SI_SI_SI_SG_SG_SK_SK_SK_SG_SN_SN_SP_SP_SR_SG_SG_NSQ_INS5_IJiNS_17integral_constantIiLi128EEEEEELb0EEENSF_INS2A_IiLi4EEEEEEEENS5_IJSU_SV_SW_SX_SY_SZ_S10_S11_S12_S13_S14_S15_S16_S17_S18_S19_S1A_NST_IJLi23EEEES1J_NST_IJLi24EEEEEEENS5_IJS1C_S10_S11_S12_S13_S14_S1D_S1E_S1F_S1G_S1H_S17_S18_S1A_S19_S1I_S1J_NST_IJLi26EEEENST_IJLi27ELi28EEEENST_IJLi29EEEEEEENST_IJLi26ELi27ELi28ELi29EEEElEENSB_INS5_IJSR_SP_SP_SR_SG_SG_S2D_S2F_EEENS5_IJSU_SV_SW_SY_SX_SZ_S11_S10_EEENS5_IJS1P_SX_SY_S1Q_S11_S12_NST_IJLi9ELi10EEEES1D_EEENST_IJLi8ELi9ELi10ELi11EEEElEENS5_IJNSB_INS5_IJSK_SP_SP_NSQ_INS5_IJiNS2A_IiLi2EEENS2A_IiLi64EEEEEELb0EEES2Z_EEENS5_IJSU_SV_SW_SX_SY_EEENS5_IJS1P_SX_SY_NST_IJLi5ELi6ELi7EEEENST_IJLi8ELi9ELi10EEEEEEENST_IJLi5ELi6ELi7ELi8ELi9ELi10EEEElEEEEES36_NS_31BlockToCTileMap_M00_N00_M01_N01ILi128ELi128ES1Y_Lb0EEENS1_30ComputePtrOffsetOfStridedBatchILi1ELi1ELi1EvEELb1ELb0EEEvPKT0_S3E_T1_PT2_T3_T4_T5_iT6_T7_T8_T9_T10_T11_
; %bb.0:
	s_clause 0x2
	s_load_b32 s2, s[0:1], 0x24
	s_load_b128 s[28:31], s[0:1], 0x3c
	s_load_b32 s55, s[0:1], 0x4c
	v_lshrrev_b32_e32 v40, 1, v0
	s_mov_b32 s39, 0x31004000
	v_dual_mov_b32 v107, 0 :: v_dual_lshlrev_b32 v42, 1, v0
	v_lshrrev_b32_e32 v41, 5, v0
	v_mov_b32_e32 v81, 0
	v_mov_b32_e32 v79, 0
	v_dual_mov_b32 v27, 0 :: v_dual_mov_b32 v36, 0
	s_delay_alu instid0(VALU_DEP_4)
	v_lshlrev_b32_e32 v43, 6, v41
	v_and_b32_e32 v51, 0x1f8, v42
	v_lshlrev_b32_e32 v41, 3, v41
	v_dual_mov_b32 v33, 0 :: v_dual_mov_b32 v68, 0
	v_dual_mov_b32 v35, 0 :: v_dual_mov_b32 v70, 0
	;; [unrolled: 1-line block ×3, first 2 shown]
	s_wait_kmcnt 0x0
	s_abs_i32 s3, s2
	v_dual_mov_b32 v37, 0 :: v_dual_mov_b32 v74, 0
	s_cvt_f32_u32 s4, s3
	s_sub_co_i32 s6, 0, s3
	s_load_b128 s[12:15], s[0:1], 0x2c0
	v_dual_mov_b32 v39, 0 :: v_dual_mov_b32 v76, 0
	v_rcp_iflag_f32_e32 v1, s4
	s_clause 0x4
	s_load_b32 s4, s[0:1], 0x300
	s_load_b128 s[8:11], s[0:1], 0x0
	s_load_b64 s[74:75], s[0:1], 0x18
	s_load_b32 s59, s[0:1], 0x58
	s_load_b96 s[56:58], s[0:1], 0x54
	v_dual_mov_b32 v67, 0 :: v_dual_mov_b32 v84, 0
	v_dual_mov_b32 v69, 0 :: v_dual_mov_b32 v86, 0
	;; [unrolled: 1-line block ×4, first 2 shown]
	v_readfirstlane_b32 s5, v1
	v_dual_mov_b32 v85, 0 :: v_dual_mov_b32 v80, 0
	v_dual_mov_b32 v77, 0 :: v_dual_mov_b32 v92, 0
	s_mul_f32 s5, s5, 0x4f7ffffe
	v_dual_mov_b32 v83, 0 :: v_dual_mov_b32 v94, 0
	v_dual_mov_b32 v93, 0 :: v_dual_mov_b32 v96, 0
	s_wait_alu 0xfffe
	s_cvt_u32_f32 s5, s5
	s_wait_kmcnt 0x0
	s_abs_i32 s7, s4
	s_xor_b32 s2, s4, s2
	v_dual_mov_b32 v87, 0 :: v_dual_mov_b32 v90, 0
	s_wait_alu 0xfffe
	s_mul_i32 s6, s6, s5
	s_ashr_i32 s2, s2, 31
	s_mul_hi_u32 s6, s5, s6
	v_dual_mov_b32 v89, 0 :: v_dual_mov_b32 v100, 0
	s_add_co_i32 s5, s5, s6
	v_dual_mov_b32 v91, 0 :: v_dual_mov_b32 v102, 0
	s_wait_alu 0xfffe
	s_mul_hi_u32 s5, s7, s5
	v_dual_mov_b32 v101, 0 :: v_dual_mov_b32 v98, 0
	s_wait_alu 0xfffe
	s_mul_i32 s4, s5, s3
	s_add_co_i32 s6, s5, 1
	s_wait_alu 0xfffe
	s_sub_co_i32 s4, s7, s4
	v_dual_mov_b32 v103, 0 :: v_dual_mov_b32 v104, 0
	s_wait_alu 0xfffe
	s_sub_co_i32 s7, s4, s3
	s_cmp_ge_u32 s4, s3
	v_dual_mov_b32 v95, 0 :: v_dual_mov_b32 v106, 0
	s_cselect_b32 s5, s6, s5
	s_cselect_b32 s4, s7, s4
	s_wait_alu 0xfffe
	s_add_co_i32 s6, s5, 1
	s_cmp_ge_u32 s4, s3
	v_dual_mov_b32 v97, 0 :: v_dual_mov_b32 v82, 0
	s_cselect_b32 s3, s6, s5
	s_abs_i32 s19, ttmp9
	s_xor_b32 s3, s3, s2
	v_dual_mov_b32 v99, 0 :: v_dual_mov_b32 v30, 0
	s_sub_co_i32 s3, s3, s2
	v_dual_mov_b32 v105, 0 :: v_dual_mov_b32 v28, 0
	s_abs_i32 s16, s3
	s_xor_b32 s3, ttmp9, s3
	s_cvt_f32_u32 s2, s16
	s_sub_co_i32 s18, 0, s16
	s_ashr_i32 s3, s3, 31
	s_mov_b32 s43, s39
	v_rcp_iflag_f32_e32 v1, s2
	s_clause 0x3
	s_load_b32 s57, s[0:1], 0x64
	s_load_b96 s[60:62], s[0:1], 0x60
	s_load_b96 s[44:46], s[0:1], 0x10c
	s_load_b32 s2, s[0:1], 0x120
	s_wait_kmcnt 0x0
	s_clause 0x9
	s_load_b32 s61, s[0:1], 0x12c
	s_load_b32 s67, s[0:1], 0x13c
	;; [unrolled: 1-line block ×3, first 2 shown]
	s_load_b64 s[76:77], s[0:1], 0x88
	s_load_b64 s[78:79], s[0:1], 0x98
	s_load_b96 s[64:66], s[0:1], 0x6c
	s_load_b64 s[80:81], s[0:1], 0xa8
	s_load_b96 s[24:26], s[0:1], 0xb8
	s_load_b96 s[48:50], s[0:1], 0xec
	;; [unrolled: 1-line block ×3, first 2 shown]
	v_mov_b32_e32 v18, 0
	v_dual_mov_b32 v20, 0 :: v_dual_mov_b32 v23, 0
	s_load_b32 s35, s[0:1], 0x28c
	v_readfirstlane_b32 s4, v1
	v_lshlrev_b32_e32 v1, 3, v0
	v_lshlrev_b32_e32 v0, 2, v0
	v_mov_b32_e32 v22, 0
	v_mov_b32_e32 v38, 0
	s_mul_f32 s4, s4, 0x4f7ffffe
	v_dual_mov_b32 v26, 0 :: v_dual_and_b32 v31, 8, v1
	v_mov_b32_e32 v24, 0
	s_wait_alu 0xfffe
	s_cvt_u32_f32 s17, s4
	s_clause 0x1
	s_load_b128 s[20:23], s[0:1], 0x298
	s_load_b128 s[4:7], s[0:1], 0x2ac
	v_or_b32_e32 v1, 4, v31
	s_wait_kmcnt 0x0
	v_mul_lo_u32 v59, s67, v31
	s_mul_i32 s18, s18, s17
	s_clause 0x1
	s_load_b96 s[68:70], s[0:1], 0xc8
	s_load_b96 s[40:42], s[0:1], 0xd8
	s_mul_hi_u32 s18, s17, s18
	v_mul_lo_u32 v44, s67, v1
	s_add_co_i32 s17, s17, s18
	v_or_b32_e32 v57, 20, v31
	s_mul_hi_u32 s17, s19, s17
	v_mul_hi_u32 v1, v59, s54
	s_mul_i32 s18, s17, s16
	v_or_b32_e32 v56, 32, v31
	s_sub_co_i32 s18, s19, s18
	s_add_co_i32 s19, s17, 1
	s_sub_co_i32 s27, s18, s16
	s_cmp_ge_u32 s18, s16
	v_mul_hi_u32 v2, v44, s54
	s_cselect_b32 s17, s19, s17
	s_cselect_b32 s18, s27, s18
	s_add_co_i32 s19, s17, 1
	s_cmp_ge_u32 s18, s16
	s_mul_hi_u32 s7, s7, ttmp9
	s_cselect_b32 s27, s19, s17
	s_add_co_i32 s7, ttmp9, s7
	v_add_nc_u32_e32 v1, v59, v1
	s_lshr_b32 s33, s7, s15
	s_load_b32 s7, s[0:1], 0x27c
	s_mul_hi_u32 s6, s33, s6
	v_add_nc_u32_e32 v2, v44, v2
	s_add_co_i32 s6, s33, s6
	v_lshrrev_b32_e32 v1, s46, v1
	s_lshr_b32 s34, s6, s14
	s_sub_co_i32 s56, s56, s58
	s_mul_hi_u32 s5, s34, s5
	v_lshrrev_b32_e32 v2, s46, v2
	s_wait_alu 0xfffe
	s_add_co_i32 s5, s34, s5
	s_mul_i32 s6, s34, s22
	s_wait_alu 0xfffe
	s_lshr_b32 s5, s5, s13
	s_sub_co_i32 s47, s33, s6
	s_wait_alu 0xfffe
	s_mul_hi_u32 s4, s5, s4
	v_mul_hi_u32 v3, v1, s53
	s_wait_alu 0xfffe
	s_add_co_i32 s4, s5, s4
	v_mul_hi_u32 v4, v2, s53
	s_wait_alu 0xfffe
	s_lshr_b32 s4, s4, s12
	v_mul_lo_u32 v7, v2, s50
	s_wait_alu 0xfffe
	s_mul_i32 s4, s4, s20
	v_mul_lo_u32 v6, v1, s50
	s_wait_alu 0xfffe
	s_sub_co_i32 s4, s5, s4
	v_add_nc_u32_e32 v3, v1, v3
	s_wait_kmcnt 0x0
	s_wait_alu 0xfffe
	s_mul_i32 s4, s4, s7
	v_add_nc_u32_e32 v4, v2, v4
	s_wait_alu 0xfffe
	s_add_co_i32 s47, s47, s4
	v_sub_nc_u32_e32 v45, v44, v7
	s_wait_alu 0xfffe
	v_lshl_or_b32 v64, s47, 7, v40
	v_lshrrev_b32_e32 v3, s45, v3
	v_lshrrev_b32_e32 v4, s45, v4
	s_clause 0x7
	s_load_b32 s65, s[0:1], 0x198
	s_load_b32 s38, s[0:1], 0x160
	;; [unrolled: 1-line block ×6, first 2 shown]
	s_load_b64 s[72:73], s[0:1], 0x1d0
	s_load_b256 s[12:19], s[0:1], 0x2d8
	v_mul_hi_u32 v5, v64, s70
	v_mul_hi_u32 v9, v3, s52
	v_mul_hi_u32 v10, v4, s52
	v_mul_lo_u32 v11, v4, s49
	v_mul_lo_u32 v8, v3, s49
	s_xor_b32 s4, s27, s3
	s_mul_i32 s5, s5, s21
	s_mul_i32 s33, s33, s23
	v_add_nc_u32_e32 v5, v64, v5
	v_add_nc_u32_e32 v7, v3, v9
	;; [unrolled: 1-line block ×3, first 2 shown]
	v_sub_nc_u32_e32 v46, v2, v11
	v_sub_nc_u32_e32 v1, v1, v8
	v_lshrrev_b32_e32 v5, s42, v5
	v_mov_b32_e32 v19, 0
	v_lshrrev_b32_e32 v47, s44, v9
	v_lshrrev_b32_e32 v7, s44, v7
	v_sub_nc_u32_e32 v9, v46, v1
	v_mul_hi_u32 v2, v5, s69
	v_mul_lo_u32 v1, v1, s80
	v_mul_lo_u32 v11, v47, s48
	;; [unrolled: 1-line block ×4, first 2 shown]
	v_sub_nc_u32_e32 v12, v47, v7
	s_sub_co_i32 s51, ttmp9, s33
	v_sub_nc_u32_e32 v6, v59, v6
	v_add_nc_u32_e32 v2, v5, v2
	s_wait_kmcnt 0x0
	v_mul_lo_u32 v63, s65, v31
	v_sub_nc_u32_e32 v48, v4, v11
	v_mul_lo_u32 v112, v12, s76
	v_mul_lo_u32 v12, v5, s26
	v_lshrrev_b32_e32 v9, s41, v2
	v_sub_nc_u32_e32 v10, v3, v10
	v_mov_b32_e32 v25, 0
	v_mul_lo_u32 v2, v7, s76
	v_mul_lo_u32 v8, v6, s55
	v_mul_hi_u32 v4, v9, s68
	v_mul_lo_u32 v13, v9, s25
	v_mul_lo_u32 v3, v10, s78
	s_wait_alu 0xfffe
	s_sub_co_i32 s68, s4, s3
	s_sub_co_i32 s3, s34, s5
	v_sub_nc_u32_e32 v10, v48, v10
	s_wait_alu 0xfffe
	s_mul_i32 s3, s3, s35
	v_sub_nc_u32_e32 v6, v45, v6
	v_add_nc_u32_e32 v4, v9, v4
	v_sub_nc_u32_e32 v5, v5, v13
	s_wait_alu 0xfffe
	s_add_co_i32 s51, s51, s3
	v_mul_lo_u32 v114, v10, s78
	s_wait_alu 0xfffe
	v_lshl_or_b32 v113, s51, 7, v40
	v_lshrrev_b32_e32 v17, s40, v4
	v_sub_nc_u32_e32 v4, v64, v12
	s_ashr_i32 s69, s68, 31
	v_mul_lo_u32 v6, v6, s55
	v_mul_lo_u32 v49, v113, s22
	;; [unrolled: 1-line block ×3, first 2 shown]
	v_mad_co_u64_u32 v[13:14], null, v4, s81, v[1:2]
	v_mad_co_u64_u32 v[14:15], null, v5, s79, v[3:4]
	v_mul_lo_u32 v7, v65, s31
	v_mul_lo_u32 v11, v112, s29
	;; [unrolled: 1-line block ×3, first 2 shown]
	v_sub_nc_u32_e32 v1, v9, v12
	s_wait_alu 0xfffe
	s_mul_u64 s[4:5], s[14:15], s[68:69]
	v_dual_mov_b32 v32, 0 :: v_dual_add_nc_u32 v5, v49, v63
	s_wait_alu 0xfffe
	s_add_nc_u64 s[40:41], s[10:11], s[4:5]
	v_mad_co_u64_u32 v[15:16], null, v1, s77, v[2:3]
	v_subrev_nc_u32_e32 v1, s63, v13
	v_subrev_nc_u32_e32 v2, s57, v14
	s_wait_alu 0xfffe
	s_and_b32 s41, s41, 0xffff
	s_mov_b32 s7, s39
	s_mov_b32 s4, s40
	v_mul_lo_u32 v9, v1, s31
	v_mul_lo_u32 v12, v2, s30
	v_subrev_nc_u32_e32 v16, s59, v15
	s_wait_alu 0xfffe
	s_mov_b32 s5, s41
	s_lshl_b32 s10, s65, 2
	v_add3_u32 v11, v7, v6, v11
	buffer_load_b128 v[1:4], v5, s[4:7], null offen
	v_mul_lo_u32 v16, v16, s29
	v_dual_mov_b32 v34, 0 :: v_dual_add_nc_u32 v5, s10, v5
	v_add3_u32 v8, v9, v8, v12
	v_mul_lo_u32 v9, v114, s30
	s_mul_u64 s[12:13], s[12:13], s[68:69]
	v_lshlrev_b32_e32 v40, 2, v40
	s_add_nc_u64 s[36:37], s[8:9], s[12:13]
	v_add3_u32 v10, v8, v10, v16
	buffer_load_b128 v[5:8], v5, s[4:7], null offen
	s_and_b32 s37, s37, 0xffff
	v_lshl_or_b32 v50, v31, 9, v40
	v_sub_nc_u32_e32 v40, v51, v43
	v_add3_u32 v66, v11, v9, v10
	s_clause 0x1
	buffer_load_b128 v[9:12], v10, s[36:39], null offen
	buffer_load_b128 v[108:111], v66, s[36:39], null offen
	s_clause 0x3
	s_load_b32 s15, s[0:1], 0x22c
	s_load_b32 s28, s[0:1], 0x238
	s_load_b64 s[22:23], s[0:1], 0x260
	s_load_b32 s7, s[0:1], 0x148
	v_and_or_b32 v43, v42, 4, v41
	v_or_b32_e32 v41, 36, v31
	v_or_b32_e32 v31, 16, v31
	s_wait_kmcnt 0x0
	s_clause 0x3
	s_load_b32 s23, s[0:1], 0x1dc
	s_load_b32 s33, s[0:1], 0x1e8
	s_load_b64 s[26:27], s[0:1], 0x210
	s_load_b64 s[34:35], s[0:1], 0x220
	v_and_or_b32 v42, v0, 4, v40
	v_mul_lo_u32 v53, s65, v57
	v_mul_lo_u32 v55, s67, v41
	;; [unrolled: 1-line block ×3, first 2 shown]
	v_cmp_gt_i32_e64 s3, s61, v59
	v_cmp_gt_i32_e64 s5, s20, v63
	v_add_nc_u32_e32 v0, s10, v63
	v_add_nc_u32_e32 v63, v13, v65
	s_wait_kmcnt 0x0
	s_mov_b32 s27, s53
	s_mov_b32 s42, s6
	v_mov_b32_e32 v59, v55
	s_mul_i32 s6, s67, 12
	s_sub_co_i32 s53, s64, s66
	s_mov_b32 s25, s54
	v_mul_lo_u32 v51, s65, v41
	s_sub_co_i32 s58, s7, 32
	s_lshl_b32 s7, s67, 2
	v_mul_lo_u32 v52, s65, v56
	v_mul_lo_u32 v54, s65, v31
	s_sub_co_i32 s54, s60, s62
	s_lshl_b32 s60, s65, 5
	s_add_co_i32 s65, s7, s6
	s_wait_alu 0xfffe
	v_cmp_gt_i32_e64 s7, s53, v13
	v_cmp_gt_i32_e64 s4, s61, v44
	v_cmp_gt_i32_e64 s8, s53, v63
	v_mov_b32_e32 v61, v57
	v_cmp_gt_i32_e64 s2, s2, v64
	v_cmp_le_i32_e64 s9, s63, v13
	s_and_b32 s10, s7, s3
	v_cmp_le_i32_e64 s3, s63, v63
	v_add_nc_u32_e32 v64, v14, v114
	s_and_b32 s8, s8, s4
	v_cmp_le_i32_e64 s4, s57, v14
	v_cmp_gt_i32_e64 s7, s54, v14
	s_wait_alu 0xfffe
	s_and_b32 s9, s10, s9
	s_and_b32 s10, s8, s3
	v_cmp_le_i32_e64 s3, s57, v64
	v_cmp_gt_i32_e64 s8, s54, v64
	s_and_b32 s11, s4, s7
	v_cmp_le_i32_e64 s4, s59, v15
	v_cmp_gt_i32_e64 s7, s56, v15
	v_add_nc_u32_e32 v65, v15, v112
	v_cmp_gt_i32_e32 vcc_lo, s71, v113
	s_and_b32 s3, s3, s8
	s_wait_alu 0xfffe
	s_and_b32 s8, s9, s11
	s_and_b32 s9, s10, s3
	;; [unrolled: 1-line block ×3, first 2 shown]
	v_cmp_le_i32_e64 s3, s59, v65
	v_cmp_gt_i32_e64 s4, s56, v65
	v_mul_lo_u32 v56, s67, v56
	v_mul_lo_u32 v58, s67, v31
	v_cmp_gt_i32_e64 s6, s20, v0
	s_and_b32 s5, s5, vcc_lo
	s_and_b32 s3, s3, s4
	s_and_b32 s4, s8, s7
	v_dual_mov_b32 v16, 0 :: v_dual_mov_b32 v17, 0
	v_dual_mov_b32 v73, 0 :: v_dual_lshlrev_b32 v40, 2, v43
	v_dual_mov_b32 v29, 0 :: v_dual_mov_b32 v60, v56
	v_dual_mov_b32 v62, v58 :: v_dual_lshlrev_b32 v41, 2, v42
	s_mov_b32 s21, 0
	s_mov_b32 s24, 0
	s_lshl_b32 s62, s67, 5
	s_sub_co_i32 s64, 0, s50
	s_wait_loadcnt 0x3
	s_wait_alu 0xfffe
	v_cndmask_b32_e64 v2, 0, v2, s5
	v_cndmask_b32_e64 v1, 0, v1, s5
	;; [unrolled: 1-line block ×4, first 2 shown]
	s_and_b32 s5, s9, s3
	s_and_b32 s3, s6, vcc_lo
	ds_store_2addr_stride64_b32 v50, v1, v2 offset0:64 offset1:66
	ds_store_2addr_stride64_b32 v50, v3, v0 offset0:68 offset1:70
	s_wait_loadcnt 0x2
	s_wait_alu 0xfffe
	v_cndmask_b32_e64 v0, 0, v8, s3
	v_cndmask_b32_e64 v1, 0, v7, s3
	;; [unrolled: 1-line block ×4, first 2 shown]
	s_and_b32 s3, s2, s4
	s_wait_loadcnt 0x1
	s_wait_alu 0xfffe
	v_cndmask_b32_e64 v4, 0, v12, s3
	v_cndmask_b32_e64 v5, 0, v11, s3
	;; [unrolled: 1-line block ×4, first 2 shown]
	s_and_b32 s3, s2, s5
	s_wait_loadcnt 0x0
	s_wait_alu 0xfffe
	v_cndmask_b32_e64 v9, 0, v109, s3
	v_cndmask_b32_e64 v10, 0, v108, s3
	;; [unrolled: 1-line block ×4, first 2 shown]
	ds_store_2addr_stride64_b32 v50, v3, v2 offset0:72 offset1:74
	ds_store_2addr_stride64_b32 v50, v7, v6 offset1:2
	ds_store_2addr_stride64_b32 v50, v5, v4 offset0:4 offset1:6
	ds_store_2addr_stride64_b32 v50, v10, v9 offset0:8 offset1:10
	;; [unrolled: 1-line block ×4, first 2 shown]
.LBB10_1:                               ; =>This Inner Loop Header: Depth=1
	v_mul_hi_u32 v12, s25, v62
	v_mul_hi_u32 v13, s25, v61
	;; [unrolled: 1-line block ×3, first 2 shown]
	v_add_nc_u32_e32 v11, s21, v58
	v_mul_hi_u32 v15, s25, v59
	v_add_nc_u32_e32 v8, s21, v57
	v_add_nc_u32_e32 v9, s21, v56
	;; [unrolled: 1-line block ×4, first 2 shown]
	v_cmp_gt_i32_e64 s3, s20, v54
	v_add_nc_u32_e32 v13, v8, v13
	v_add_nc_u32_e32 v14, v9, v14
	;; [unrolled: 1-line block ×3, first 2 shown]
	v_lshrrev_b32_e32 v109, s46, v12
	v_cmp_gt_i32_e64 s4, s20, v53
	v_lshrrev_b32_e32 v110, s46, v13
	v_lshrrev_b32_e32 v14, s46, v14
	;; [unrolled: 1-line block ×3, first 2 shown]
	v_mul_lo_u32 v111, s64, v109
	v_mul_hi_u32 v112, v109, s27
	v_cmp_gt_i32_e64 s9, s61, v8
	s_and_b32 s7, vcc_lo, s3
	s_and_b32 s3, vcc_lo, s4
	v_cmp_gt_i32_e64 s4, s61, v9
	v_mad_co_u64_u32 v[12:13], null, s64, v110, v[8:9]
	v_mad_co_u64_u32 v[8:9], null, s64, v14, v[9:10]
	v_cmp_gt_i32_e64 s10, s61, v10
	v_mad_co_u64_u32 v[9:10], null, s64, v15, v[10:11]
	v_mul_hi_u32 v13, v110, s27
	v_mul_hi_u32 v113, v14, s27
	;; [unrolled: 1-line block ×3, first 2 shown]
	v_add_nc_u32_e32 v115, v11, v111
	v_sub_nc_u32_e32 v111, v111, v45
	v_add_nc_u32_e32 v112, v109, v112
	v_mul_lo_u32 v114, v15, s50
	v_add3_u32 v44, s65, s65, v44
	v_cmp_gt_i32_e64 s8, s61, v11
	v_add_nc_u32_e32 v13, v110, v13
	v_sub_nc_u32_e32 v116, v8, v12
	v_add_nc_u32_e32 v113, v14, v113
	v_sub_nc_u32_e32 v8, v9, v8
	v_add_nc_u32_e32 v9, v15, v10
	v_add_nc_u32_e32 v10, v11, v111
	v_lshrrev_b32_e32 v11, s45, v112
	v_sub_nc_u32_e32 v45, v44, v114
	v_lshrrev_b32_e32 v13, s45, v13
	v_lshrrev_b32_e32 v111, s45, v113
	v_sub_nc_u32_e32 v12, v12, v115
	v_mul_lo_u32 v113, v11, s49
	v_mul_hi_u32 v114, v11, s52
	v_mul_lo_u32 v112, v116, s55
	v_lshrrev_b32_e32 v9, s45, v9
	v_mul_lo_u32 v115, v13, s49
	v_mul_hi_u32 v116, v13, s52
	v_mul_hi_u32 v118, v111, s52
	v_mul_lo_u32 v117, v111, s49
	v_sub_nc_u32_e32 v109, v109, v113
	v_add_nc_u32_e32 v113, v11, v114
	v_mul_lo_u32 v120, v9, s49
	v_mul_hi_u32 v119, v9, s52
	v_sub_nc_u32_e32 v110, v110, v115
	v_add_nc_u32_e32 v114, v13, v116
	v_add_nc_u32_e32 v115, v111, v118
	v_lshrrev_b32_e32 v113, s44, v113
	v_sub_nc_u32_e32 v14, v14, v117
	v_sub_nc_u32_e32 v117, v109, v46
	v_lshrrev_b32_e32 v114, s44, v114
	v_lshrrev_b32_e32 v115, s44, v115
	v_sub_nc_u32_e32 v46, v15, v120
	v_mul_lo_u32 v15, v113, s48
	v_mul_lo_u32 v117, v117, s80
	v_add_nc_u32_e32 v116, v9, v119
	v_sub_nc_u32_e32 v109, v110, v109
	v_sub_nc_u32_e32 v118, v113, v47
	v_mul_lo_u32 v119, v114, s48
	v_sub_nc_u32_e32 v113, v114, v113
	v_mul_lo_u32 v120, v115, s48
	;; [unrolled: 2-line block ×3, first 2 shown]
	v_lshrrev_b32_e32 v47, s44, v116
	v_mul_lo_u32 v116, v118, s76
	v_sub_nc_u32_e32 v11, v11, v15
	v_mul_lo_u32 v10, v10, s55
	v_sub_nc_u32_e32 v114, v115, v114
	v_mul_lo_u32 v113, v113, s76
	v_add_nc_u32_e32 v15, v117, v63
	v_mul_lo_u32 v63, v117, s31
	v_mul_lo_u32 v110, v110, s80
	v_sub_nc_u32_e32 v14, v46, v14
	v_sub_nc_u32_e32 v115, v47, v115
	;; [unrolled: 1-line block ×5, first 2 shown]
	v_mul_lo_u32 v114, v114, s76
	v_mul_lo_u32 v118, v47, s48
	v_add_nc_u32_e32 v65, v116, v65
	v_cmp_le_i32_e64 s11, s63, v15
	v_cmp_gt_i32_e64 s12, s53, v15
	v_add_nc_u32_e32 v15, v109, v15
	v_mul_lo_u32 v12, v12, s55
	v_mul_lo_u32 v14, v14, s80
	;; [unrolled: 1-line block ×4, first 2 shown]
	v_sub_nc_u32_e32 v11, v13, v11
	v_mul_lo_u32 v109, v113, s29
	v_add3_u32 v10, v10, v66, v63
	v_mul_lo_u32 v66, v120, s78
	s_and_b32 s66, s12, s8
	v_cmp_le_i32_e64 s8, s59, v65
	v_cmp_gt_i32_e64 s12, s56, v65
	v_add_nc_u32_e32 v63, v113, v65
	v_cmp_le_i32_e64 s13, s63, v15
	v_cmp_gt_i32_e64 s14, s53, v15
	v_add_nc_u32_e32 v15, v110, v15
	v_mul_lo_u32 v119, v110, s31
	v_mul_lo_u32 v121, v114, s29
	;; [unrolled: 1-line block ×3, first 2 shown]
	v_sub_nc_u32_e32 v48, v9, v118
	v_mul_lo_u32 v8, v8, s55
	v_mul_lo_u32 v116, v116, s29
	v_sub_nc_u32_e32 v13, v111, v13
	v_mul_lo_u32 v9, v14, s31
	v_mul_lo_u32 v113, v115, s29
	s_wait_alu 0xfffe
	s_and_b32 s70, s66, s11
	v_add3_u32 v12, v117, v12, v109
	s_and_b32 s71, s8, s12
	s_and_b32 s14, s14, s9
	v_cmp_le_i32_e64 s8, s59, v63
	v_cmp_gt_i32_e64 s9, s56, v63
	v_add_nc_u32_e32 v109, v114, v63
	v_cmp_le_i32_e64 s11, s63, v15
	v_cmp_gt_i32_e64 s12, s53, v15
	v_add_nc_u32_e32 v63, v14, v15
	v_add_nc_u32_e32 v15, v66, v64
	v_mul_lo_u32 v64, v66, s30
	v_sub_nc_u32_e32 v65, v48, v111
	v_mul_lo_u32 v13, v13, s78
	v_add3_u32 v110, v119, v112, v121
	v_mul_lo_u32 v112, v11, s30
	s_and_b32 s77, s14, s13
	s_and_b32 s13, s12, s4
	v_cmp_gt_i32_e64 s12, s53, v63
	v_mul_lo_u32 v14, v65, s78
	v_add3_u32 v66, v9, v8, v113
	s_and_b32 s66, s8, s9
	v_cmp_le_i32_e64 s4, s59, v109
	v_cmp_gt_i32_e64 s8, s56, v109
	v_add_nc_u32_e32 v65, v115, v109
	v_cmp_le_i32_e64 s9, s63, v63
	s_and_b32 s67, s13, s11
	v_cmp_le_i32_e64 s11, s57, v15
	v_cmp_gt_i32_e64 s13, s54, v15
	v_add_nc_u32_e32 v8, v11, v15
	v_add3_u32 v15, v10, v116, v64
	s_and_b32 s10, s12, s10
	v_add_nc_u32_e32 v0, v49, v54
	v_mul_lo_u32 v111, v13, s30
	s_and_b32 s14, s4, s8
	v_cmp_le_i32_e64 s4, s59, v65
	v_cmp_gt_i32_e64 s8, s56, v65
	s_wait_alu 0xfffe
	s_and_b32 s12, s10, s9
	v_cmp_le_i32_e64 s9, s57, v8
	v_cmp_gt_i32_e64 s10, s54, v8
	v_add_nc_u32_e32 v13, v13, v8
	v_add3_u32 v112, v12, v15, v112
	v_add_nc_u32_e32 v1, v49, v53
	s_clause 0x1
	buffer_load_b128 v[4:7], v0, s[40:43], null offen
	buffer_load_b128 v[0:3], v1, s[40:43], null offen
	v_mul_lo_u32 v109, v14, s30
	s_and_b32 s11, s11, s13
	s_and_b32 s13, s4, s8
	buffer_load_b128 v[8:11], v15, s[36:39], null offen
	s_and_b32 s10, s9, s10
	v_cmp_le_i32_e64 s8, s57, v13
	v_cmp_gt_i32_e64 s9, s54, v13
	v_add_nc_u32_e32 v64, v14, v13
	buffer_load_b128 v[12:15], v112, s[36:39], null offen
	s_wait_dscnt 0x0
	s_barrier_signal -1
	s_barrier_wait -1
	ds_load_b128 v[113:116], v40
	ds_load_b128 v[117:120], v41 offset:16384
	ds_load_b128 v[121:124], v41 offset:16640
	;; [unrolled: 1-line block ×18, first 2 shown]
	v_add_nc_u32_e32 v31, v49, v52
	v_add_nc_u32_e32 v108, v49, v51
	s_and_b32 s11, s70, s11
	s_and_b32 s70, s77, s10
	s_wait_dscnt 0xf
	v_dot4_i32_iu8 v36, v125, v121, v36 neg_lo:[1,1,0]
	v_dot4_i32_iu8 v195, v126, v122, v22 neg_lo:[1,1,0]
	;; [unrolled: 1-line block ×10, first 2 shown]
	s_wait_alu 0xfffe
	s_and_b32 s4, s71, s11
	s_wait_dscnt 0xb
	v_dot4_i32_iu8 v30, v144, v133, v30 neg_lo:[1,1,0]
	v_dot4_i32_iu8 v73, v144, v134, v73 neg_lo:[1,1,0]
	;; [unrolled: 1-line block ×34, first 2 shown]
	ds_load_b128 v[74:77], v40 offset:2304
	v_dot4_i32_iu8 v71, v125, v117, v71 neg_lo:[1,1,0]
	v_dot4_i32_iu8 v116, v125, v118, v70 neg_lo:[1,1,0]
	;; [unrolled: 1-line block ×16, first 2 shown]
	ds_load_b128 v[67:70], v40 offset:2560
	v_dot4_i32_iu8 v118, v125, v122, v34 neg_lo:[1,1,0]
	v_dot4_i32_iu8 v119, v125, v123, v32 neg_lo:[1,1,0]
	;; [unrolled: 1-line block ×6, first 2 shown]
	ds_load_b128 v[16:19], v41 offset:18944
	ds_load_b128 v[20:23], v41 offset:19200
	v_dot4_i32_iu8 v107, v137, v129, v107 neg_lo:[1,1,0]
	v_dot4_i32_iu8 v106, v137, v130, v106 neg_lo:[1,1,0]
	;; [unrolled: 1-line block ×32, first 2 shown]
	ds_load_b128 v[24:27], v40 offset:2816
	v_dot4_i32_iu8 v71, v141, v129, v71 neg_lo:[1,1,0]
	v_dot4_i32_iu8 v116, v141, v130, v116 neg_lo:[1,1,0]
	;; [unrolled: 1-line block ×16, first 2 shown]
	ds_load_b128 v[32:35], v40 offset:3072
	v_dot4_i32_iu8 v132, v141, v133, v36 neg_lo:[1,1,0]
	v_dot4_i32_iu8 v118, v141, v134, v118 neg_lo:[1,1,0]
	v_dot4_i32_iu8 v119, v141, v135, v119 neg_lo:[1,1,0]
	v_dot4_i32_iu8 v120, v141, v136, v120 neg_lo:[1,1,0]
	v_dot4_i32_iu8 v125, v142, v133, v125 neg_lo:[1,1,0]
	v_dot4_i32_iu8 v141, v142, v134, v195 neg_lo:[1,1,0]
	v_dot4_i32_iu8 v193, v142, v135, v196 neg_lo:[1,1,0]
	v_dot4_i32_iu8 v126, v142, v136, v126 neg_lo:[1,1,0]
	v_dot4_i32_iu8 v142, v143, v133, v197 neg_lo:[1,1,0]
	v_dot4_i32_iu8 v194, v143, v134, v198 neg_lo:[1,1,0]
	v_dot4_i32_iu8 v195, v143, v135, v199 neg_lo:[1,1,0]
	v_dot4_i32_iu8 v127, v143, v136, v127 neg_lo:[1,1,0]
	v_dot4_i32_iu8 v28, v144, v135, v28 neg_lo:[1,1,0]
	v_dot4_i32_iu8 v29, v144, v136, v29 neg_lo:[1,1,0]
	ds_load_b128 v[36:39], v41 offset:19456
	ds_load_b128 v[78:81], v41 offset:19712
	s_wait_dscnt 0x10
	v_dot4_i32_iu8 v107, v153, v145, v107 neg_lo:[1,1,0]
	v_dot4_i32_iu8 v106, v153, v146, v106 neg_lo:[1,1,0]
	v_dot4_i32_iu8 v105, v153, v147, v105 neg_lo:[1,1,0]
	v_dot4_i32_iu8 v104, v153, v148, v104 neg_lo:[1,1,0]
	v_dot4_i32_iu8 v103, v154, v145, v103 neg_lo:[1,1,0]
	v_dot4_i32_iu8 v102, v154, v146, v102 neg_lo:[1,1,0]
	v_dot4_i32_iu8 v101, v154, v147, v101 neg_lo:[1,1,0]
	v_dot4_i32_iu8 v100, v154, v148, v100 neg_lo:[1,1,0]
	v_dot4_i32_iu8 v133, v155, v145, v96 neg_lo:[1,1,0]
	v_dot4_i32_iu8 v134, v155, v146, v94 neg_lo:[1,1,0]
	v_dot4_i32_iu8 v135, v155, v147, v93 neg_lo:[1,1,0]
	v_dot4_i32_iu8 v136, v155, v148, v92 neg_lo:[1,1,0]
	v_dot4_i32_iu8 v143, v156, v145, v88 neg_lo:[1,1,0]
	v_dot4_i32_iu8 v144, v156, v146, v86 neg_lo:[1,1,0]
	v_dot4_i32_iu8 v196, v156, v147, v85 neg_lo:[1,1,0]
	v_dot4_i32_iu8 v197, v156, v148, v84 neg_lo:[1,1,0]
	v_dot4_i32_iu8 v99, v153, v149, v99 neg_lo:[1,1,0]
	v_dot4_i32_iu8 v98, v153, v150, v98 neg_lo:[1,1,0]
	v_dot4_i32_iu8 v198, v153, v151, v97 neg_lo:[1,1,0]
	v_dot4_i32_iu8 v153, v153, v152, v95 neg_lo:[1,1,0]
	v_dot4_i32_iu8 v199, v154, v149, v91 neg_lo:[1,1,0]
	v_dot4_i32_iu8 v200, v154, v150, v90 neg_lo:[1,1,0]
	v_dot4_i32_iu8 v201, v154, v151, v89 neg_lo:[1,1,0]
	v_dot4_i32_iu8 v154, v154, v152, v87 neg_lo:[1,1,0]
	v_dot4_i32_iu8 v202, v155, v149, v83 neg_lo:[1,1,0]
	v_dot4_i32_iu8 v121, v155, v150, v121 neg_lo:[1,1,0]
	v_dot4_i32_iu8 v122, v155, v151, v122 neg_lo:[1,1,0]
	v_dot4_i32_iu8 v113, v155, v152, v113 neg_lo:[1,1,0]
	v_dot4_i32_iu8 v114, v156, v149, v114 neg_lo:[1,1,0]
	v_dot4_i32_iu8 v115, v156, v150, v115 neg_lo:[1,1,0]
	v_dot4_i32_iu8 v123, v156, v151, v123 neg_lo:[1,1,0]
	v_dot4_i32_iu8 v72, v156, v152, v72 neg_lo:[1,1,0]
	ds_load_b128 v[82:85], v40 offset:3328
	ds_load_b128 v[86:89], v40 offset:3584
	s_wait_dscnt 0x11
	v_dot4_i32_iu8 v71, v157, v145, v71 neg_lo:[1,1,0]
	v_dot4_i32_iu8 v116, v157, v146, v116 neg_lo:[1,1,0]
	v_dot4_i32_iu8 v124, v157, v147, v124 neg_lo:[1,1,0]
	v_dot4_i32_iu8 v128, v157, v148, v128 neg_lo:[1,1,0]
	v_dot4_i32_iu8 v137, v158, v145, v137 neg_lo:[1,1,0]
	v_dot4_i32_iu8 v138, v158, v146, v138 neg_lo:[1,1,0]
	v_dot4_i32_iu8 v139, v158, v147, v139 neg_lo:[1,1,0]
	v_dot4_i32_iu8 v140, v158, v148, v140 neg_lo:[1,1,0]
	v_dot4_i32_iu8 v155, v159, v145, v189 neg_lo:[1,1,0]
	v_dot4_i32_iu8 v156, v159, v146, v190 neg_lo:[1,1,0]
	v_dot4_i32_iu8 v189, v159, v147, v191 neg_lo:[1,1,0]
	v_dot4_i32_iu8 v190, v159, v148, v192 neg_lo:[1,1,0]
	v_dot4_i32_iu8 v117, v160, v145, v117 neg_lo:[1,1,0]
	v_dot4_i32_iu8 v129, v160, v146, v129 neg_lo:[1,1,0]
	v_dot4_i32_iu8 v130, v160, v147, v130 neg_lo:[1,1,0]
	v_dot4_i32_iu8 v131, v160, v148, v131 neg_lo:[1,1,0]
	v_dot4_i32_iu8 v132, v157, v149, v132 neg_lo:[1,1,0]
	v_dot4_i32_iu8 v118, v157, v150, v118 neg_lo:[1,1,0]
	;; [unrolled: 35-line block ×4, first 2 shown]
	v_dot4_i32_iu8 v163, v173, v167, v119 neg_lo:[1,1,0]
	v_dot4_i32_iu8 v164, v173, v168, v120 neg_lo:[1,1,0]
	;; [unrolled: 1-line block ×14, first 2 shown]
	ds_load_b128 v[113:116], v41 offset:20480
	ds_load_b128 v[117:120], v41 offset:20736
	s_wait_dscnt 0x11
	v_dot4_i32_iu8 v107, v177, v181, v107 neg_lo:[1,1,0]
	v_dot4_i32_iu8 v106, v177, v182, v106 neg_lo:[1,1,0]
	;; [unrolled: 1-line block ×16, first 2 shown]
	s_wait_dscnt 0x10
	v_dot4_i32_iu8 v160, v177, v185, v160 neg_lo:[1,1,0]
	v_dot4_i32_iu8 v165, v177, v186, v191 neg_lo:[1,1,0]
	;; [unrolled: 1-line block ×16, first 2 shown]
	ds_load_b128 v[121:124], v40 offset:4352
	s_wait_dscnt 0x10
	v_dot4_i32_iu8 v192, v74, v181, v71 neg_lo:[1,1,0]
	v_dot4_i32_iu8 v172, v74, v182, v172 neg_lo:[1,1,0]
	;; [unrolled: 1-line block ×16, first 2 shown]
	ds_load_b128 v[125:128], v40 offset:4608
	v_dot4_i32_iu8 v184, v74, v185, v132 neg_lo:[1,1,0]
	v_dot4_i32_iu8 v162, v74, v186, v162 neg_lo:[1,1,0]
	;; [unrolled: 1-line block ×16, first 2 shown]
	ds_load_b128 v[71:74], v41 offset:20992
	ds_load_b128 v[129:132], v41 offset:21248
	s_wait_dscnt 0x11
	v_dot4_i32_iu8 v77, v67, v16, v107 neg_lo:[1,1,0]
	v_dot4_i32_iu8 v106, v67, v17, v106 neg_lo:[1,1,0]
	;; [unrolled: 1-line block ×16, first 2 shown]
	s_wait_dscnt 0x10
	v_dot4_i32_iu8 v159, v67, v20, v160 neg_lo:[1,1,0]
	v_dot4_i32_iu8 v160, v67, v21, v165 neg_lo:[1,1,0]
	;; [unrolled: 1-line block ×16, first 2 shown]
	ds_load_b128 v[67:70], v40 offset:4864
	s_wait_dscnt 0x10
	v_dot4_i32_iu8 v180, v24, v16, v192 neg_lo:[1,1,0]
	v_dot4_i32_iu8 v172, v24, v17, v172 neg_lo:[1,1,0]
	;; [unrolled: 1-line block ×16, first 2 shown]
	ds_load_b128 v[16:19], v40 offset:5120
	v_dot4_i32_iu8 v184, v24, v20, v184 neg_lo:[1,1,0]
	v_dot4_i32_iu8 v162, v24, v21, v162 neg_lo:[1,1,0]
	;; [unrolled: 1-line block ×16, first 2 shown]
	ds_load_b128 v[20:23], v41 offset:21504
	ds_load_b128 v[24:27], v41 offset:21760
	s_wait_dscnt 0x11
	v_dot4_i32_iu8 v189, v32, v36, v77 neg_lo:[1,1,0]
	v_dot4_i32_iu8 v106, v32, v37, v106 neg_lo:[1,1,0]
	;; [unrolled: 1-line block ×16, first 2 shown]
	s_wait_dscnt 0x10
	v_dot4_i32_iu8 v159, v32, v78, v159 neg_lo:[1,1,0]
	v_dot4_i32_iu8 v160, v32, v79, v160 neg_lo:[1,1,0]
	;; [unrolled: 1-line block ×16, first 2 shown]
	ds_load_b128 v[32:35], v40 offset:5376
	s_wait_dscnt 0x10
	v_dot4_i32_iu8 v180, v82, v36, v180 neg_lo:[1,1,0]
	v_dot4_i32_iu8 v172, v82, v37, v172 neg_lo:[1,1,0]
	;; [unrolled: 1-line block ×16, first 2 shown]
	ds_load_b128 v[36:39], v40 offset:5632
	v_dot4_i32_iu8 v184, v82, v78, v184 neg_lo:[1,1,0]
	v_dot4_i32_iu8 v162, v82, v79, v162 neg_lo:[1,1,0]
	;; [unrolled: 1-line block ×16, first 2 shown]
	ds_load_b128 v[75:78], v41 offset:22016
	ds_load_b128 v[79:82], v41 offset:22272
	s_wait_dscnt 0x11
	v_dot4_i32_iu8 v189, v86, v90, v189 neg_lo:[1,1,0]
	v_dot4_i32_iu8 v106, v86, v91, v106 neg_lo:[1,1,0]
	;; [unrolled: 1-line block ×16, first 2 shown]
	s_wait_dscnt 0x10
	v_dot4_i32_iu8 v159, v86, v94, v159 neg_lo:[1,1,0]
	v_dot4_i32_iu8 v160, v86, v95, v160 neg_lo:[1,1,0]
	;; [unrolled: 1-line block ×16, first 2 shown]
	ds_load_b128 v[83:86], v40 offset:5888
	s_wait_dscnt 0x10
	v_dot4_i32_iu8 v180, v98, v90, v180 neg_lo:[1,1,0]
	v_dot4_i32_iu8 v172, v98, v91, v172 neg_lo:[1,1,0]
	;; [unrolled: 1-line block ×32, first 2 shown]
	s_wait_dscnt 0xe
	v_dot4_i32_iu8 v189, v102, v113, v189 neg_lo:[1,1,0]
	v_dot4_i32_iu8 v192, v102, v114, v106 neg_lo:[1,1,0]
	v_dot4_i32_iu8 v107, v102, v115, v107 neg_lo:[1,1,0]
	v_dot4_i32_iu8 v148, v102, v116, v148 neg_lo:[1,1,0]
	v_dot4_i32_iu8 v149, v103, v113, v149 neg_lo:[1,1,0]
	v_dot4_i32_iu8 v150, v103, v114, v150 neg_lo:[1,1,0]
	v_dot4_i32_iu8 v151, v103, v115, v151 neg_lo:[1,1,0]
	v_dot4_i32_iu8 v152, v103, v116, v152 neg_lo:[1,1,0]
	v_dot4_i32_iu8 v133, v104, v113, v133 neg_lo:[1,1,0]
	v_dot4_i32_iu8 v134, v104, v114, v134 neg_lo:[1,1,0]
	v_dot4_i32_iu8 v135, v104, v115, v135 neg_lo:[1,1,0]
	v_dot4_i32_iu8 v136, v104, v116, v136 neg_lo:[1,1,0]
	v_dot4_i32_iu8 v143, v105, v113, v143 neg_lo:[1,1,0]
	v_dot4_i32_iu8 v144, v105, v114, v144 neg_lo:[1,1,0]
	v_dot4_i32_iu8 v157, v105, v115, v157 neg_lo:[1,1,0]
	v_dot4_i32_iu8 v158, v105, v116, v158 neg_lo:[1,1,0]
	s_wait_dscnt 0xd
	v_dot4_i32_iu8 v159, v102, v117, v159 neg_lo:[1,1,0]
	v_dot4_i32_iu8 v160, v102, v118, v160 neg_lo:[1,1,0]
	v_dot4_i32_iu8 v165, v102, v119, v165 neg_lo:[1,1,0]
	v_dot4_i32_iu8 v153, v102, v120, v153 neg_lo:[1,1,0]
	v_dot4_i32_iu8 v166, v103, v117, v166 neg_lo:[1,1,0]
	v_dot4_i32_iu8 v167, v103, v118, v167 neg_lo:[1,1,0]
	v_dot4_i32_iu8 v168, v103, v119, v168 neg_lo:[1,1,0]
	v_dot4_i32_iu8 v154, v103, v120, v154 neg_lo:[1,1,0]
	v_dot4_i32_iu8 v169, v104, v117, v169 neg_lo:[1,1,0]
	v_dot4_i32_iu8 v170, v104, v118, v170 neg_lo:[1,1,0]
	v_dot4_i32_iu8 v175, v104, v119, v175 neg_lo:[1,1,0]
	v_dot4_i32_iu8 v171, v104, v120, v171 neg_lo:[1,1,0]
	v_dot4_i32_iu8 v176, v105, v117, v176 neg_lo:[1,1,0]
	v_dot4_i32_iu8 v177, v105, v118, v177 neg_lo:[1,1,0]
	v_dot4_i32_iu8 v178, v105, v119, v178 neg_lo:[1,1,0]
	v_dot4_i32_iu8 v179, v105, v120, v179 neg_lo:[1,1,0]
	;; [unrolled: 17-line block ×3, first 2 shown]
	v_dot4_i32_iu8 v184, v121, v117, v184 neg_lo:[1,1,0]
	v_dot4_i32_iu8 v162, v121, v118, v162 neg_lo:[1,1,0]
	v_dot4_i32_iu8 v163, v121, v119, v163 neg_lo:[1,1,0]
	v_dot4_i32_iu8 v164, v121, v120, v164 neg_lo:[1,1,0]
	v_dot4_i32_iu8 v173, v122, v117, v173 neg_lo:[1,1,0]
	v_dot4_i32_iu8 v141, v122, v118, v141 neg_lo:[1,1,0]
	v_dot4_i32_iu8 v145, v122, v119, v145 neg_lo:[1,1,0]
	v_dot4_i32_iu8 v190, v122, v120, v190 neg_lo:[1,1,0]
	v_dot4_i32_iu8 v142, v123, v117, v142 neg_lo:[1,1,0]
	v_dot4_i32_iu8 v146, v123, v118, v146 neg_lo:[1,1,0]
	v_dot4_i32_iu8 v147, v123, v119, v147 neg_lo:[1,1,0]
	v_dot4_i32_iu8 v191, v123, v120, v191 neg_lo:[1,1,0]
	v_dot4_i32_iu8 v30, v124, v117, v30 neg_lo:[1,1,0]
	v_dot4_i32_iu8 v174, v124, v118, v174 neg_lo:[1,1,0]
	v_dot4_i32_iu8 v28, v124, v119, v28 neg_lo:[1,1,0]
	v_dot4_i32_iu8 v29, v124, v120, v29 neg_lo:[1,1,0]
	s_wait_dscnt 0xa
	v_dot4_i32_iu8 v189, v125, v71, v189 neg_lo:[1,1,0]
	v_dot4_i32_iu8 v192, v125, v72, v192 neg_lo:[1,1,0]
	v_dot4_i32_iu8 v107, v125, v73, v107 neg_lo:[1,1,0]
	v_dot4_i32_iu8 v148, v125, v74, v148 neg_lo:[1,1,0]
	v_dot4_i32_iu8 v149, v126, v71, v149 neg_lo:[1,1,0]
	v_dot4_i32_iu8 v150, v126, v72, v150 neg_lo:[1,1,0]
	v_dot4_i32_iu8 v151, v126, v73, v151 neg_lo:[1,1,0]
	v_dot4_i32_iu8 v152, v126, v74, v152 neg_lo:[1,1,0]
	v_dot4_i32_iu8 v133, v127, v71, v133 neg_lo:[1,1,0]
	v_dot4_i32_iu8 v134, v127, v72, v134 neg_lo:[1,1,0]
	v_dot4_i32_iu8 v135, v127, v73, v135 neg_lo:[1,1,0]
	v_dot4_i32_iu8 v136, v127, v74, v136 neg_lo:[1,1,0]
	v_dot4_i32_iu8 v143, v128, v71, v143 neg_lo:[1,1,0]
	v_dot4_i32_iu8 v144, v128, v72, v144 neg_lo:[1,1,0]
	v_dot4_i32_iu8 v157, v128, v73, v157 neg_lo:[1,1,0]
	v_dot4_i32_iu8 v158, v128, v74, v158 neg_lo:[1,1,0]
	s_wait_dscnt 0x9
	v_dot4_i32_iu8 v159, v125, v129, v159 neg_lo:[1,1,0]
	v_dot4_i32_iu8 v160, v125, v130, v160 neg_lo:[1,1,0]
	v_dot4_i32_iu8 v165, v125, v131, v165 neg_lo:[1,1,0]
	v_dot4_i32_iu8 v153, v125, v132, v153 neg_lo:[1,1,0]
	v_dot4_i32_iu8 v166, v126, v129, v166 neg_lo:[1,1,0]
	v_dot4_i32_iu8 v167, v126, v130, v167 neg_lo:[1,1,0]
	v_dot4_i32_iu8 v168, v126, v131, v168 neg_lo:[1,1,0]
	v_dot4_i32_iu8 v154, v126, v132, v154 neg_lo:[1,1,0]
	v_dot4_i32_iu8 v169, v127, v129, v169 neg_lo:[1,1,0]
	v_dot4_i32_iu8 v170, v127, v130, v170 neg_lo:[1,1,0]
	v_dot4_i32_iu8 v175, v127, v131, v175 neg_lo:[1,1,0]
	v_dot4_i32_iu8 v171, v127, v132, v171 neg_lo:[1,1,0]
	v_dot4_i32_iu8 v176, v128, v129, v176 neg_lo:[1,1,0]
	v_dot4_i32_iu8 v177, v128, v130, v177 neg_lo:[1,1,0]
	v_dot4_i32_iu8 v178, v128, v131, v178 neg_lo:[1,1,0]
	v_dot4_i32_iu8 v179, v128, v132, v179 neg_lo:[1,1,0]
	s_wait_dscnt 0x8
	v_dot4_i32_iu8 v180, v67, v71, v180 neg_lo:[1,1,0]
	v_dot4_i32_iu8 v172, v67, v72, v172 neg_lo:[1,1,0]
	v_dot4_i32_iu8 v185, v67, v73, v185 neg_lo:[1,1,0]
	v_dot4_i32_iu8 v186, v67, v74, v186 neg_lo:[1,1,0]
	v_dot4_i32_iu8 v137, v68, v71, v137 neg_lo:[1,1,0]
	v_dot4_i32_iu8 v138, v68, v72, v138 neg_lo:[1,1,0]
	v_dot4_i32_iu8 v139, v68, v73, v139 neg_lo:[1,1,0]
	v_dot4_i32_iu8 v140, v68, v74, v140 neg_lo:[1,1,0]
	v_dot4_i32_iu8 v155, v69, v71, v155 neg_lo:[1,1,0]
	v_dot4_i32_iu8 v156, v69, v72, v156 neg_lo:[1,1,0]
	v_dot4_i32_iu8 v187, v69, v73, v187 neg_lo:[1,1,0]
	v_dot4_i32_iu8 v188, v69, v74, v188 neg_lo:[1,1,0]
	v_dot4_i32_iu8 v161, v70, v71, v161 neg_lo:[1,1,0]
	v_dot4_i32_iu8 v181, v70, v72, v181 neg_lo:[1,1,0]
	v_dot4_i32_iu8 v182, v70, v73, v182 neg_lo:[1,1,0]
	v_dot4_i32_iu8 v183, v70, v74, v183 neg_lo:[1,1,0]
	v_dot4_i32_iu8 v184, v67, v129, v184 neg_lo:[1,1,0]
	v_dot4_i32_iu8 v162, v67, v130, v162 neg_lo:[1,1,0]
	v_dot4_i32_iu8 v163, v67, v131, v163 neg_lo:[1,1,0]
	v_dot4_i32_iu8 v164, v67, v132, v164 neg_lo:[1,1,0]
	v_dot4_i32_iu8 v173, v68, v129, v173 neg_lo:[1,1,0]
	v_dot4_i32_iu8 v141, v68, v130, v141 neg_lo:[1,1,0]
	v_dot4_i32_iu8 v145, v68, v131, v145 neg_lo:[1,1,0]
	v_dot4_i32_iu8 v190, v68, v132, v190 neg_lo:[1,1,0]
	v_dot4_i32_iu8 v142, v69, v129, v142 neg_lo:[1,1,0]
	v_dot4_i32_iu8 v146, v69, v130, v146 neg_lo:[1,1,0]
	v_dot4_i32_iu8 v147, v69, v131, v147 neg_lo:[1,1,0]
	v_dot4_i32_iu8 v191, v69, v132, v191 neg_lo:[1,1,0]
	v_dot4_i32_iu8 v30, v70, v129, v30 neg_lo:[1,1,0]
	v_dot4_i32_iu8 v174, v70, v130, v174 neg_lo:[1,1,0]
	v_dot4_i32_iu8 v28, v70, v131, v28 neg_lo:[1,1,0]
	v_dot4_i32_iu8 v29, v70, v132, v29 neg_lo:[1,1,0]
	s_wait_dscnt 0x6
	v_dot4_i32_iu8 v189, v16, v20, v189 neg_lo:[1,1,0]
	v_dot4_i32_iu8 v192, v16, v21, v192 neg_lo:[1,1,0]
	v_dot4_i32_iu8 v107, v16, v22, v107 neg_lo:[1,1,0]
	v_dot4_i32_iu8 v148, v16, v23, v148 neg_lo:[1,1,0]
	v_dot4_i32_iu8 v149, v17, v20, v149 neg_lo:[1,1,0]
	v_dot4_i32_iu8 v150, v17, v21, v150 neg_lo:[1,1,0]
	v_dot4_i32_iu8 v151, v17, v22, v151 neg_lo:[1,1,0]
	v_dot4_i32_iu8 v152, v17, v23, v152 neg_lo:[1,1,0]
	v_dot4_i32_iu8 v193, v18, v20, v133 neg_lo:[1,1,0]
	v_dot4_i32_iu8 v194, v18, v21, v134 neg_lo:[1,1,0]
	v_dot4_i32_iu8 v195, v18, v22, v135 neg_lo:[1,1,0]
	v_dot4_i32_iu8 v196, v18, v23, v136 neg_lo:[1,1,0]
	v_dot4_i32_iu8 v143, v19, v20, v143 neg_lo:[1,1,0]
	v_dot4_i32_iu8 v144, v19, v21, v144 neg_lo:[1,1,0]
	v_dot4_i32_iu8 v157, v19, v22, v157 neg_lo:[1,1,0]
	v_dot4_i32_iu8 v158, v19, v23, v158 neg_lo:[1,1,0]
	s_wait_dscnt 0x5
	v_dot4_i32_iu8 v159, v16, v24, v159 neg_lo:[1,1,0]
	v_dot4_i32_iu8 v160, v16, v25, v160 neg_lo:[1,1,0]
	v_dot4_i32_iu8 v165, v16, v26, v165 neg_lo:[1,1,0]
	v_dot4_i32_iu8 v16, v16, v27, v153 neg_lo:[1,1,0]
	v_dot4_i32_iu8 v153, v17, v24, v166 neg_lo:[1,1,0]
	v_dot4_i32_iu8 v166, v17, v25, v167 neg_lo:[1,1,0]
	v_dot4_i32_iu8 v167, v17, v26, v168 neg_lo:[1,1,0]
	v_dot4_i32_iu8 v17, v17, v27, v154 neg_lo:[1,1,0]
	v_dot4_i32_iu8 v154, v18, v24, v169 neg_lo:[1,1,0]
	v_dot4_i32_iu8 v168, v18, v25, v170 neg_lo:[1,1,0]
	v_dot4_i32_iu8 v169, v18, v26, v175 neg_lo:[1,1,0]
	v_dot4_i32_iu8 v18, v18, v27, v171 neg_lo:[1,1,0]
	v_dot4_i32_iu8 v170, v19, v24, v176 neg_lo:[1,1,0]
	v_dot4_i32_iu8 v171, v19, v25, v177 neg_lo:[1,1,0]
	v_dot4_i32_iu8 v175, v19, v26, v178 neg_lo:[1,1,0]
	v_dot4_i32_iu8 v19, v19, v27, v179 neg_lo:[1,1,0]
	;; [unrolled: 17-line block ×3, first 2 shown]
	ds_load_b128 v[87:90], v40 offset:6144
	ds_load_b128 v[91:94], v41 offset:22528
	;; [unrolled: 1-line block ×13, first 2 shown]
	v_dot4_i32_iu8 v161, v32, v24, v184 neg_lo:[1,1,0]
	v_dot4_i32_iu8 v162, v32, v25, v162 neg_lo:[1,1,0]
	;; [unrolled: 1-line block ×16, first 2 shown]
	ds_load_b128 v[24:27], v41 offset:24064
	ds_load_b128 v[32:35], v41 offset:24320
	s_wait_dscnt 0x11
	v_dot4_i32_iu8 v186, v36, v75, v189 neg_lo:[1,1,0]
	v_dot4_i32_iu8 v187, v36, v76, v192 neg_lo:[1,1,0]
	;; [unrolled: 1-line block ×16, first 2 shown]
	s_wait_dscnt 0x10
	v_dot4_i32_iu8 v192, v36, v82, v16 neg_lo:[1,1,0]
	v_add3_u32 v16, v110, v111, v112
	buffer_load_b128 v[28:31], v31, s[40:43], null offen
	s_wait_dscnt 0xf
	v_dot4_i32_iu8 v110, v83, v75, v176 neg_lo:[1,1,0]
	v_dot4_i32_iu8 v111, v83, v76, v172 neg_lo:[1,1,0]
	;; [unrolled: 1-line block ×16, first 2 shown]
	buffer_load_b128 v[75:78], v108, s[40:43], null offen
	buffer_load_b128 v[20:23], v16, s[36:39], null offen
	v_add3_u32 v66, v66, v109, v16
	v_dot4_i32_iu8 v193, v37, v82, v17 neg_lo:[1,1,0]
	v_dot4_i32_iu8 v194, v38, v82, v18 neg_lo:[1,1,0]
	;; [unrolled: 1-line block ×4, first 2 shown]
	buffer_load_b128 v[16:19], v66, s[36:39], null offen
	v_dot4_i32_iu8 v160, v36, v80, v160 neg_lo:[1,1,0]
	v_dot4_i32_iu8 v165, v36, v81, v165 neg_lo:[1,1,0]
	;; [unrolled: 1-line block ×11, first 2 shown]
	ds_load_b128 v[36:39], v40 offset:7936
	v_dot4_i32_iu8 v108, v83, v79, v161 neg_lo:[1,1,0]
	v_dot4_i32_iu8 v161, v83, v80, v162 neg_lo:[1,1,0]
	v_dot4_i32_iu8 v162, v83, v81, v163 neg_lo:[1,1,0]
	v_dot4_i32_iu8 v83, v83, v82, v164 neg_lo:[1,1,0]
	v_dot4_i32_iu8 v163, v84, v79, v173 neg_lo:[1,1,0]
	v_dot4_i32_iu8 v141, v84, v80, v141 neg_lo:[1,1,0]
	v_dot4_i32_iu8 v145, v84, v81, v145 neg_lo:[1,1,0]
	v_dot4_i32_iu8 v84, v84, v82, v181 neg_lo:[1,1,0]
	v_dot4_i32_iu8 v142, v85, v79, v142 neg_lo:[1,1,0]
	v_dot4_i32_iu8 v146, v85, v80, v146 neg_lo:[1,1,0]
	v_dot4_i32_iu8 v147, v85, v81, v147 neg_lo:[1,1,0]
	v_dot4_i32_iu8 v85, v85, v82, v182 neg_lo:[1,1,0]
	v_dot4_i32_iu8 v79, v86, v79, v183 neg_lo:[1,1,0]
	v_dot4_i32_iu8 v80, v86, v80, v174 neg_lo:[1,1,0]
	v_dot4_i32_iu8 v81, v86, v81, v184 neg_lo:[1,1,0]
	v_dot4_i32_iu8 v82, v86, v82, v185 neg_lo:[1,1,0]
	s_wait_dscnt 0xe
	v_dot4_i32_iu8 v86, v87, v91, v186 neg_lo:[1,1,0]
	v_dot4_i32_iu8 v109, v87, v92, v187 neg_lo:[1,1,0]
	v_dot4_i32_iu8 v107, v87, v93, v107 neg_lo:[1,1,0]
	v_dot4_i32_iu8 v148, v87, v94, v148 neg_lo:[1,1,0]
	v_dot4_i32_iu8 v149, v88, v91, v149 neg_lo:[1,1,0]
	v_dot4_i32_iu8 v150, v88, v92, v150 neg_lo:[1,1,0]
	v_dot4_i32_iu8 v151, v88, v93, v151 neg_lo:[1,1,0]
	v_dot4_i32_iu8 v152, v88, v94, v152 neg_lo:[1,1,0]
	v_dot4_i32_iu8 v164, v89, v91, v188 neg_lo:[1,1,0]
	v_dot4_i32_iu8 v173, v89, v92, v189 neg_lo:[1,1,0]
	v_dot4_i32_iu8 v174, v89, v93, v190 neg_lo:[1,1,0]
	v_dot4_i32_iu8 v181, v89, v94, v191 neg_lo:[1,1,0]
	v_dot4_i32_iu8 v143, v90, v91, v143 neg_lo:[1,1,0]
	v_dot4_i32_iu8 v144, v90, v92, v144 neg_lo:[1,1,0]
	v_dot4_i32_iu8 v157, v90, v93, v157 neg_lo:[1,1,0]
	v_dot4_i32_iu8 v158, v90, v94, v158 neg_lo:[1,1,0]
	s_wait_dscnt 0xd
	;; [unrolled: 17-line block ×3, first 2 shown]
	v_dot4_i32_iu8 v110, v99, v91, v110 neg_lo:[1,1,0]
	v_dot4_i32_iu8 v111, v99, v92, v111 neg_lo:[1,1,0]
	;; [unrolled: 1-line block ×32, first 2 shown]
	s_wait_dscnt 0xa
	v_dot4_i32_iu8 v86, v103, v113, v86 neg_lo:[1,1,0]
	v_dot4_i32_iu8 v95, v103, v114, v109 neg_lo:[1,1,0]
	v_dot4_i32_iu8 v96, v103, v115, v107 neg_lo:[1,1,0]
	v_dot4_i32_iu8 v97, v103, v116, v148 neg_lo:[1,1,0]
	v_dot4_i32_iu8 v98, v104, v113, v149 neg_lo:[1,1,0]
	v_dot4_i32_iu8 v101, v104, v114, v150 neg_lo:[1,1,0]
	v_dot4_i32_iu8 v102, v104, v115, v151 neg_lo:[1,1,0]
	v_dot4_i32_iu8 v107, v104, v116, v152 neg_lo:[1,1,0]
	v_dot4_i32_iu8 v109, v105, v113, v164 neg_lo:[1,1,0]
	v_dot4_i32_iu8 v147, v105, v114, v173 neg_lo:[1,1,0]
	v_dot4_i32_iu8 v148, v105, v115, v174 neg_lo:[1,1,0]
	v_dot4_i32_iu8 v149, v105, v116, v181 neg_lo:[1,1,0]
	v_dot4_i32_iu8 v143, v106, v113, v143 neg_lo:[1,1,0]
	v_dot4_i32_iu8 v144, v106, v114, v144 neg_lo:[1,1,0]
	v_dot4_i32_iu8 v150, v106, v115, v157 neg_lo:[1,1,0]
	v_dot4_i32_iu8 v151, v106, v116, v158 neg_lo:[1,1,0]
	s_wait_dscnt 0x9
	v_dot4_i32_iu8 v152, v103, v117, v159 neg_lo:[1,1,0]
	v_dot4_i32_iu8 v157, v103, v118, v160 neg_lo:[1,1,0]
	v_dot4_i32_iu8 v158, v103, v119, v165 neg_lo:[1,1,0]
	v_dot4_i32_iu8 v87, v103, v120, v87 neg_lo:[1,1,0]
	v_dot4_i32_iu8 v103, v104, v117, v153 neg_lo:[1,1,0]
	v_dot4_i32_iu8 v153, v104, v118, v166 neg_lo:[1,1,0]
	v_dot4_i32_iu8 v159, v104, v119, v167 neg_lo:[1,1,0]
	v_dot4_i32_iu8 v88, v104, v120, v88 neg_lo:[1,1,0]
	v_dot4_i32_iu8 v104, v105, v117, v154 neg_lo:[1,1,0]
	v_dot4_i32_iu8 v154, v105, v118, v168 neg_lo:[1,1,0]
	v_dot4_i32_iu8 v160, v105, v119, v169 neg_lo:[1,1,0]
	v_dot4_i32_iu8 v89, v105, v120, v89 neg_lo:[1,1,0]
	v_dot4_i32_iu8 v105, v106, v117, v170 neg_lo:[1,1,0]
	v_dot4_i32_iu8 v163, v106, v118, v171 neg_lo:[1,1,0]
	v_dot4_i32_iu8 v164, v106, v119, v175 neg_lo:[1,1,0]
	v_dot4_i32_iu8 v90, v106, v120, v90 neg_lo:[1,1,0]
	;; [unrolled: 17-line block ×3, first 2 shown]
	v_dot4_i32_iu8 v113, v121, v118, v161 neg_lo:[1,1,0]
	v_dot4_i32_iu8 v114, v121, v119, v162 neg_lo:[1,1,0]
	;; [unrolled: 1-line block ×16, first 2 shown]
	s_wait_loadcnt 0x7
	v_cndmask_b32_e64 v5, 0, v5, s7
	v_cndmask_b32_e64 v4, 0, v4, s7
	s_and_b32 s66, s66, s70
	v_cndmask_b32_e64 v7, 0, v7, s7
	v_cndmask_b32_e64 v6, 0, v6, s7
	s_wait_loadcnt 0x6
	v_cndmask_b32_e64 v1, 0, v1, s3
	v_cndmask_b32_e64 v0, 0, v0, s3
	v_cmp_gt_i32_e64 s5, s20, v52
	v_cmp_gt_i32_e64 s6, s20, v51
	s_and_b32 s4, s2, s4
	s_and_b32 s9, s8, s9
	s_wait_alu 0xfffe
	s_and_b32 s8, s2, s66
	v_cndmask_b32_e64 v3, 0, v3, s3
	v_cndmask_b32_e64 v2, 0, v2, s3
	s_wait_dscnt 0x6
	v_dot4_i32_iu8 v86, v71, v67, v86 neg_lo:[1,1,0]
	v_dot4_i32_iu8 v95, v71, v68, v95 neg_lo:[1,1,0]
	v_dot4_i32_iu8 v96, v71, v69, v96 neg_lo:[1,1,0]
	v_dot4_i32_iu8 v97, v71, v70, v97 neg_lo:[1,1,0]
	v_dot4_i32_iu8 v98, v72, v67, v98 neg_lo:[1,1,0]
	v_dot4_i32_iu8 v101, v72, v68, v101 neg_lo:[1,1,0]
	v_dot4_i32_iu8 v102, v72, v69, v102 neg_lo:[1,1,0]
	v_dot4_i32_iu8 v107, v72, v70, v107 neg_lo:[1,1,0]
	v_dot4_i32_iu8 v109, v73, v67, v109 neg_lo:[1,1,0]
	v_dot4_i32_iu8 v117, v73, v68, v147 neg_lo:[1,1,0]
	v_dot4_i32_iu8 v118, v73, v69, v148 neg_lo:[1,1,0]
	v_dot4_i32_iu8 v119, v73, v70, v149 neg_lo:[1,1,0]
	v_dot4_i32_iu8 v120, v74, v67, v143 neg_lo:[1,1,0]
	v_dot4_i32_iu8 v123, v74, v68, v144 neg_lo:[1,1,0]
	v_dot4_i32_iu8 v124, v74, v69, v150 neg_lo:[1,1,0]
	v_dot4_i32_iu8 v141, v74, v70, v151 neg_lo:[1,1,0]
	s_wait_dscnt 0x5
	v_dot4_i32_iu8 v142, v71, v125, v152 neg_lo:[1,1,0]
	v_dot4_i32_iu8 v143, v71, v126, v157 neg_lo:[1,1,0]
	v_dot4_i32_iu8 v144, v71, v127, v158 neg_lo:[1,1,0]
	v_dot4_i32_iu8 v71, v71, v128, v87 neg_lo:[1,1,0]
	v_dot4_i32_iu8 v87, v72, v125, v103 neg_lo:[1,1,0]
	v_dot4_i32_iu8 v103, v72, v126, v153 neg_lo:[1,1,0]
	v_dot4_i32_iu8 v145, v72, v127, v159 neg_lo:[1,1,0]
	v_dot4_i32_iu8 v72, v72, v128, v88 neg_lo:[1,1,0]
	v_dot4_i32_iu8 v88, v73, v125, v104 neg_lo:[1,1,0]
	v_dot4_i32_iu8 v104, v73, v126, v154 neg_lo:[1,1,0]
	v_dot4_i32_iu8 v146, v73, v127, v160 neg_lo:[1,1,0]
	v_dot4_i32_iu8 v73, v73, v128, v89 neg_lo:[1,1,0]
	v_dot4_i32_iu8 v89, v74, v125, v105 neg_lo:[1,1,0]
	v_dot4_i32_iu8 v105, v74, v126, v163 neg_lo:[1,1,0]
	v_dot4_i32_iu8 v147, v74, v127, v164 neg_lo:[1,1,0]
	v_dot4_i32_iu8 v74, v74, v128, v90 neg_lo:[1,1,0]
	s_wait_dscnt 0x4
	v_dot4_i32_iu8 v90, v129, v67, v106 neg_lo:[1,1,0]
	v_dot4_i32_iu8 v106, v129, v68, v110 neg_lo:[1,1,0]
	v_dot4_i32_iu8 v110, v129, v69, v111 neg_lo:[1,1,0]
	v_dot4_i32_iu8 v111, v129, v70, v112 neg_lo:[1,1,0]
	v_dot4_i32_iu8 v112, v130, v67, v137 neg_lo:[1,1,0]
	v_dot4_i32_iu8 v137, v130, v68, v138 neg_lo:[1,1,0]
	v_dot4_i32_iu8 v138, v130, v69, v139 neg_lo:[1,1,0]
	v_dot4_i32_iu8 v139, v130, v70, v140 neg_lo:[1,1,0]
	v_dot4_i32_iu8 v140, v131, v67, v155 neg_lo:[1,1,0]
	v_dot4_i32_iu8 v148, v131, v68, v156 neg_lo:[1,1,0]
	v_dot4_i32_iu8 v149, v131, v69, v165 neg_lo:[1,1,0]
	v_dot4_i32_iu8 v150, v131, v70, v166 neg_lo:[1,1,0]
	v_dot4_i32_iu8 v67, v132, v67, v91 neg_lo:[1,1,0]
	v_dot4_i32_iu8 v68, v132, v68, v92 neg_lo:[1,1,0]
	v_dot4_i32_iu8 v69, v132, v69, v93 neg_lo:[1,1,0]
	v_dot4_i32_iu8 v70, v132, v70, v94 neg_lo:[1,1,0]
	v_dot4_i32_iu8 v92, v129, v126, v113 neg_lo:[1,1,0]
	v_dot4_i32_iu8 v93, v129, v127, v114 neg_lo:[1,1,0]
	;; [unrolled: 1-line block ×16, first 2 shown]
	ds_store_2addr_stride64_b32 v50, v4, v5 offset0:96 offset1:98
	ds_store_2addr_stride64_b32 v50, v6, v7 offset0:100 offset1:102
	;; [unrolled: 1-line block ×4, first 2 shown]
	s_wait_loadcnt 0x5
	v_cndmask_b32_e64 v2, 0, v9, s4
	v_cndmask_b32_e64 v3, 0, v8, s4
	s_wait_loadcnt 0x4
	s_wait_alu 0xfffe
	v_cndmask_b32_e64 v6, 0, v13, s8
	v_cndmask_b32_e64 v7, 0, v12, s8
	v_cndmask_b32_e64 v0, 0, v11, s4
	v_cndmask_b32_e64 v1, 0, v10, s4
	v_cndmask_b32_e64 v4, 0, v15, s8
	v_cndmask_b32_e64 v5, 0, v14, s8
	s_and_b32 s11, vcc_lo, s5
	s_and_b32 s10, vcc_lo, s6
	s_wait_dscnt 0x6
	v_dot4_i32_iu8 v125, v133, v24, v86 neg_lo:[1,1,0]
	v_dot4_i32_iu8 v126, v133, v25, v95 neg_lo:[1,1,0]
	v_dot4_i32_iu8 v127, v133, v26, v96 neg_lo:[1,1,0]
	v_dot4_i32_iu8 v128, v133, v27, v97 neg_lo:[1,1,0]
	v_dot4_i32_iu8 v129, v134, v24, v98 neg_lo:[1,1,0]
	v_dot4_i32_iu8 v130, v134, v25, v101 neg_lo:[1,1,0]
	v_dot4_i32_iu8 v131, v134, v26, v102 neg_lo:[1,1,0]
	v_dot4_i32_iu8 v132, v134, v27, v107 neg_lo:[1,1,0]
	v_dot4_i32_iu8 v151, v135, v24, v109 neg_lo:[1,1,0]
	v_dot4_i32_iu8 v152, v135, v25, v117 neg_lo:[1,1,0]
	v_dot4_i32_iu8 v153, v135, v26, v118 neg_lo:[1,1,0]
	v_dot4_i32_iu8 v154, v135, v27, v119 neg_lo:[1,1,0]
	v_dot4_i32_iu8 v155, v136, v24, v120 neg_lo:[1,1,0]
	v_dot4_i32_iu8 v123, v136, v25, v123 neg_lo:[1,1,0]
	v_dot4_i32_iu8 v124, v136, v26, v124 neg_lo:[1,1,0]
	v_dot4_i32_iu8 v141, v136, v27, v141 neg_lo:[1,1,0]
	s_wait_dscnt 0x5
	v_dot4_i32_iu8 v142, v133, v32, v142 neg_lo:[1,1,0]
	v_dot4_i32_iu8 v143, v133, v33, v143 neg_lo:[1,1,0]
	v_dot4_i32_iu8 v144, v133, v34, v144 neg_lo:[1,1,0]
	v_dot4_i32_iu8 v133, v133, v35, v71 neg_lo:[1,1,0]
	v_dot4_i32_iu8 v156, v134, v32, v87 neg_lo:[1,1,0]
	v_dot4_i32_iu8 v157, v134, v33, v103 neg_lo:[1,1,0]
	v_dot4_i32_iu8 v145, v134, v34, v145 neg_lo:[1,1,0]
	v_dot4_i32_iu8 v134, v134, v35, v72 neg_lo:[1,1,0]
	v_dot4_i32_iu8 v158, v135, v32, v88 neg_lo:[1,1,0]
	v_dot4_i32_iu8 v159, v135, v33, v104 neg_lo:[1,1,0]
	v_dot4_i32_iu8 v146, v135, v34, v146 neg_lo:[1,1,0]
	v_dot4_i32_iu8 v135, v135, v35, v73 neg_lo:[1,1,0]
	v_dot4_i32_iu8 v160, v136, v32, v89 neg_lo:[1,1,0]
	v_dot4_i32_iu8 v161, v136, v33, v105 neg_lo:[1,1,0]
	v_dot4_i32_iu8 v147, v136, v34, v147 neg_lo:[1,1,0]
	v_dot4_i32_iu8 v136, v136, v35, v74 neg_lo:[1,1,0]
	;; [unrolled: 17-line block ×3, first 2 shown]
	v_dot4_i32_iu8 v172, v36, v33, v92 neg_lo:[1,1,0]
	v_dot4_i32_iu8 v173, v36, v34, v93 neg_lo:[1,1,0]
	;; [unrolled: 1-line block ×16, first 2 shown]
	ds_store_2addr_stride64_b32 v50, v3, v2 offset0:32 offset1:34
	ds_store_2addr_stride64_b32 v50, v1, v0 offset0:36 offset1:38
	s_wait_loadcnt 0x3
	s_wait_alu 0xfffe
	v_cndmask_b32_e64 v69, 0, v31, s11
	v_cndmask_b32_e64 v70, 0, v30, s11
	;; [unrolled: 1-line block ×4, first 2 shown]
	s_wait_loadcnt 0x2
	v_cndmask_b32_e64 v67, 0, v78, s10
	v_cndmask_b32_e64 v68, 0, v77, s10
	;; [unrolled: 1-line block ×4, first 2 shown]
	ds_store_2addr_stride64_b32 v50, v7, v6 offset0:40 offset1:42
	ds_store_2addr_stride64_b32 v50, v5, v4 offset0:44 offset1:46
	s_wait_dscnt 0x0
	s_barrier_signal -1
	s_barrier_wait -1
	ds_load_b128 v[0:3], v40 offset:8192
	ds_load_b128 v[4:7], v41 offset:24576
	;; [unrolled: 1-line block ×20, first 2 shown]
	v_cmp_le_i32_e64 s5, s57, v64
	s_wait_dscnt 0x12
	v_dot4_i32_iu8 v125, v0, v4, v125 neg_lo:[1,1,0]
	v_dot4_i32_iu8 v126, v0, v5, v126 neg_lo:[1,1,0]
	v_dot4_i32_iu8 v127, v0, v6, v127 neg_lo:[1,1,0]
	v_dot4_i32_iu8 v128, v0, v7, v128 neg_lo:[1,1,0]
	v_dot4_i32_iu8 v129, v1, v4, v129 neg_lo:[1,1,0]
	v_dot4_i32_iu8 v130, v1, v5, v130 neg_lo:[1,1,0]
	v_dot4_i32_iu8 v131, v1, v6, v131 neg_lo:[1,1,0]
	v_dot4_i32_iu8 v132, v1, v7, v132 neg_lo:[1,1,0]
	v_dot4_i32_iu8 v151, v2, v4, v151 neg_lo:[1,1,0]
	v_dot4_i32_iu8 v152, v2, v5, v152 neg_lo:[1,1,0]
	v_dot4_i32_iu8 v153, v2, v6, v153 neg_lo:[1,1,0]
	v_dot4_i32_iu8 v154, v2, v7, v154 neg_lo:[1,1,0]
	v_dot4_i32_iu8 v155, v3, v4, v155 neg_lo:[1,1,0]
	v_dot4_i32_iu8 v123, v3, v5, v123 neg_lo:[1,1,0]
	v_dot4_i32_iu8 v124, v3, v6, v124 neg_lo:[1,1,0]
	v_dot4_i32_iu8 v141, v3, v7, v141 neg_lo:[1,1,0]
	s_wait_dscnt 0x11
	v_dot4_i32_iu8 v142, v0, v8, v142 neg_lo:[1,1,0]
	v_dot4_i32_iu8 v143, v0, v9, v143 neg_lo:[1,1,0]
	v_dot4_i32_iu8 v144, v0, v10, v144 neg_lo:[1,1,0]
	v_dot4_i32_iu8 v133, v0, v11, v133 neg_lo:[1,1,0]
	v_dot4_i32_iu8 v156, v1, v8, v156 neg_lo:[1,1,0]
	v_dot4_i32_iu8 v157, v1, v9, v157 neg_lo:[1,1,0]
	v_dot4_i32_iu8 v145, v1, v10, v145 neg_lo:[1,1,0]
	v_dot4_i32_iu8 v134, v1, v11, v134 neg_lo:[1,1,0]
	v_dot4_i32_iu8 v158, v2, v8, v158 neg_lo:[1,1,0]
	v_dot4_i32_iu8 v159, v2, v9, v159 neg_lo:[1,1,0]
	v_dot4_i32_iu8 v146, v2, v10, v146 neg_lo:[1,1,0]
	v_dot4_i32_iu8 v135, v2, v11, v135 neg_lo:[1,1,0]
	v_dot4_i32_iu8 v160, v3, v8, v160 neg_lo:[1,1,0]
	v_dot4_i32_iu8 v161, v3, v9, v161 neg_lo:[1,1,0]
	v_dot4_i32_iu8 v147, v3, v10, v147 neg_lo:[1,1,0]
	v_dot4_i32_iu8 v136, v3, v11, v136 neg_lo:[1,1,0]
	;; [unrolled: 17-line block ×3, first 2 shown]
	v_dot4_i32_iu8 v172, v12, v9, v172 neg_lo:[1,1,0]
	v_dot4_i32_iu8 v173, v12, v10, v173 neg_lo:[1,1,0]
	v_dot4_i32_iu8 v175, v13, v8, v175 neg_lo:[1,1,0]
	ds_load_b128 v[0:3], v41 offset:27136
	ds_load_b128 v[4:7], v41 offset:27392
	v_dot4_i32_iu8 v171, v12, v8, v171 neg_lo:[1,1,0]
	v_dot4_i32_iu8 v174, v12, v11, v174 neg_lo:[1,1,0]
	v_dot4_i32_iu8 v176, v13, v9, v176 neg_lo:[1,1,0]
	v_dot4_i32_iu8 v177, v13, v10, v177 neg_lo:[1,1,0]
	v_dot4_i32_iu8 v178, v13, v11, v178 neg_lo:[1,1,0]
	v_dot4_i32_iu8 v179, v14, v8, v179 neg_lo:[1,1,0]
	v_dot4_i32_iu8 v180, v14, v9, v180 neg_lo:[1,1,0]
	v_dot4_i32_iu8 v181, v14, v10, v181 neg_lo:[1,1,0]
	v_dot4_i32_iu8 v182, v14, v11, v182 neg_lo:[1,1,0]
	v_dot4_i32_iu8 v183, v15, v8, v183 neg_lo:[1,1,0]
	v_dot4_i32_iu8 v184, v15, v9, v184 neg_lo:[1,1,0]
	v_dot4_i32_iu8 v185, v15, v10, v185 neg_lo:[1,1,0]
	v_dot4_i32_iu8 v186, v15, v11, v186 neg_lo:[1,1,0]
	ds_load_b128 v[8:11], v40 offset:10752
	ds_load_b128 v[12:15], v40 offset:11008
	s_wait_dscnt 0x11
	v_dot4_i32_iu8 v187, v32, v24, v125 neg_lo:[1,1,0]
	v_dot4_i32_iu8 v188, v32, v25, v126 neg_lo:[1,1,0]
	;; [unrolled: 1-line block ×32, first 2 shown]
	s_wait_dscnt 0x10
	v_dot4_i32_iu8 v136, v36, v24, v162 neg_lo:[1,1,0]
	v_dot4_i32_iu8 v159, v36, v25, v163 neg_lo:[1,1,0]
	;; [unrolled: 1-line block ×19, first 2 shown]
	ds_load_b128 v[123:126], v41 offset:27648
	ds_load_b128 v[24:27], v41 offset:27904
	v_dot4_i32_iu8 v167, v36, v28, v171 neg_lo:[1,1,0]
	v_dot4_i32_iu8 v36, v36, v31, v174 neg_lo:[1,1,0]
	;; [unrolled: 1-line block ×13, first 2 shown]
	ds_load_b128 v[28:31], v40 offset:11264
	ds_load_b128 v[127:130], v40 offset:11520
	s_wait_dscnt 0x11
	v_dot4_i32_iu8 v179, v83, v75, v187 neg_lo:[1,1,0]
	v_dot4_i32_iu8 v180, v83, v76, v188 neg_lo:[1,1,0]
	;; [unrolled: 1-line block ×32, first 2 shown]
	s_wait_dscnt 0x10
	v_dot4_i32_iu8 v136, v87, v75, v136 neg_lo:[1,1,0]
	v_dot4_i32_iu8 v159, v87, v76, v159 neg_lo:[1,1,0]
	;; [unrolled: 1-line block ×19, first 2 shown]
	ds_load_b128 v[83:86], v41 offset:28160
	ds_load_b128 v[75:78], v41 offset:28416
	v_dot4_i32_iu8 v167, v87, v79, v167 neg_lo:[1,1,0]
	v_dot4_i32_iu8 v36, v87, v82, v36 neg_lo:[1,1,0]
	;; [unrolled: 1-line block ×13, first 2 shown]
	ds_load_b128 v[79:82], v40 offset:11776
	ds_load_b128 v[87:90], v40 offset:12032
	s_wait_dscnt 0x11
	v_dot4_i32_iu8 v179, v99, v91, v179 neg_lo:[1,1,0]
	v_dot4_i32_iu8 v180, v99, v92, v180 neg_lo:[1,1,0]
	v_dot4_i32_iu8 v181, v99, v93, v181 neg_lo:[1,1,0]
	v_dot4_i32_iu8 v182, v99, v94, v182 neg_lo:[1,1,0]
	v_dot4_i32_iu8 v183, v100, v91, v183 neg_lo:[1,1,0]
	v_dot4_i32_iu8 v184, v100, v92, v184 neg_lo:[1,1,0]
	v_dot4_i32_iu8 v131, v100, v93, v131 neg_lo:[1,1,0]
	v_dot4_i32_iu8 v132, v100, v94, v132 neg_lo:[1,1,0]
	v_dot4_i32_iu8 v151, v101, v91, v151 neg_lo:[1,1,0]
	v_dot4_i32_iu8 v152, v101, v92, v152 neg_lo:[1,1,0]
	v_dot4_i32_iu8 v153, v101, v93, v153 neg_lo:[1,1,0]
	v_dot4_i32_iu8 v154, v101, v94, v154 neg_lo:[1,1,0]
	v_dot4_i32_iu8 v155, v102, v91, v155 neg_lo:[1,1,0]
	v_dot4_i32_iu8 v185, v102, v92, v185 neg_lo:[1,1,0]
	v_dot4_i32_iu8 v186, v102, v93, v186 neg_lo:[1,1,0]
	v_dot4_i32_iu8 v141, v102, v94, v141 neg_lo:[1,1,0]
	v_dot4_i32_iu8 v142, v99, v95, v142 neg_lo:[1,1,0]
	v_dot4_i32_iu8 v143, v99, v96, v143 neg_lo:[1,1,0]
	v_dot4_i32_iu8 v144, v99, v97, v144 neg_lo:[1,1,0]
	v_dot4_i32_iu8 v32, v99, v98, v32 neg_lo:[1,1,0]
	v_dot4_i32_iu8 v133, v100, v95, v133 neg_lo:[1,1,0]
	v_dot4_i32_iu8 v156, v100, v96, v156 neg_lo:[1,1,0]
	v_dot4_i32_iu8 v145, v100, v97, v145 neg_lo:[1,1,0]
	v_dot4_i32_iu8 v33, v100, v98, v33 neg_lo:[1,1,0]
	v_dot4_i32_iu8 v134, v101, v95, v134 neg_lo:[1,1,0]
	v_dot4_i32_iu8 v157, v101, v96, v157 neg_lo:[1,1,0]
	v_dot4_i32_iu8 v146, v101, v97, v146 neg_lo:[1,1,0]
	v_dot4_i32_iu8 v34, v101, v98, v34 neg_lo:[1,1,0]
	v_dot4_i32_iu8 v135, v102, v95, v135 neg_lo:[1,1,0]
	v_dot4_i32_iu8 v158, v102, v96, v158 neg_lo:[1,1,0]
	v_dot4_i32_iu8 v147, v102, v97, v147 neg_lo:[1,1,0]
	v_dot4_i32_iu8 v35, v102, v98, v35 neg_lo:[1,1,0]
	s_wait_dscnt 0x10
	v_dot4_i32_iu8 v136, v103, v91, v136 neg_lo:[1,1,0]
	v_dot4_i32_iu8 v159, v103, v92, v159 neg_lo:[1,1,0]
	v_dot4_i32_iu8 v160, v103, v93, v160 neg_lo:[1,1,0]
	v_dot4_i32_iu8 v161, v103, v94, v161 neg_lo:[1,1,0]
	v_dot4_i32_iu8 v162, v104, v91, v162 neg_lo:[1,1,0]
	v_dot4_i32_iu8 v137, v104, v92, v137 neg_lo:[1,1,0]
	v_dot4_i32_iu8 v138, v104, v93, v138 neg_lo:[1,1,0]
	v_dot4_i32_iu8 v139, v104, v94, v139 neg_lo:[1,1,0]
	v_dot4_i32_iu8 v140, v105, v91, v140 neg_lo:[1,1,0]
	v_dot4_i32_iu8 v148, v105, v92, v148 neg_lo:[1,1,0]
	v_dot4_i32_iu8 v149, v105, v93, v149 neg_lo:[1,1,0]
	v_dot4_i32_iu8 v150, v105, v94, v150 neg_lo:[1,1,0]
	v_dot4_i32_iu8 v163, v106, v91, v163 neg_lo:[1,1,0]
	v_dot4_i32_iu8 v164, v106, v92, v164 neg_lo:[1,1,0]
	v_dot4_i32_iu8 v165, v106, v93, v165 neg_lo:[1,1,0]
	v_dot4_i32_iu8 v166, v106, v94, v166 neg_lo:[1,1,0]
	v_dot4_i32_iu8 v168, v103, v96, v168 neg_lo:[1,1,0]
	v_dot4_i32_iu8 v169, v103, v97, v169 neg_lo:[1,1,0]
	v_dot4_i32_iu8 v170, v104, v95, v170 neg_lo:[1,1,0]
	v_dot4_i32_iu8 v167, v103, v95, v167 neg_lo:[1,1,0]
	v_dot4_i32_iu8 v36, v103, v98, v36 neg_lo:[1,1,0]
	v_dot4_i32_iu8 v171, v104, v96, v171 neg_lo:[1,1,0]
	v_dot4_i32_iu8 v172, v104, v97, v172 neg_lo:[1,1,0]
	v_dot4_i32_iu8 v37, v104, v98, v37 neg_lo:[1,1,0]
	v_dot4_i32_iu8 v173, v105, v95, v173 neg_lo:[1,1,0]
	v_dot4_i32_iu8 v174, v105, v96, v174 neg_lo:[1,1,0]
	v_dot4_i32_iu8 v175, v105, v97, v175 neg_lo:[1,1,0]
	v_dot4_i32_iu8 v38, v105, v98, v38 neg_lo:[1,1,0]
	v_dot4_i32_iu8 v176, v106, v95, v176 neg_lo:[1,1,0]
	v_dot4_i32_iu8 v177, v106, v96, v177 neg_lo:[1,1,0]
	v_dot4_i32_iu8 v178, v106, v97, v178 neg_lo:[1,1,0]
	v_dot4_i32_iu8 v39, v106, v98, v39 neg_lo:[1,1,0]
	;; [unrolled: 33-line block ×5, first 2 shown]
	s_wait_dscnt 0x8
	v_dot4_i32_iu8 v191, v12, v0, v192 neg_lo:[1,1,0]
	v_dot4_i32_iu8 v159, v12, v1, v159 neg_lo:[1,1,0]
	;; [unrolled: 1-line block ×19, first 2 shown]
	v_cmp_gt_i32_e64 s6, s54, v64
	s_and_b32 s9, s67, s9
	v_dot4_i32_iu8 v107, v12, v4, v163 neg_lo:[1,1,0]
	v_dot4_i32_iu8 v12, v12, v7, v36 neg_lo:[1,1,0]
	;; [unrolled: 1-line block ×13, first 2 shown]
	s_wait_dscnt 0x5
	v_dot4_i32_iu8 v111, v28, v123, v114 neg_lo:[1,1,0]
	v_dot4_i32_iu8 v112, v28, v124, v172 neg_lo:[1,1,0]
	;; [unrolled: 1-line block ×32, first 2 shown]
	s_wait_dscnt 0x4
	v_dot4_i32_iu8 v184, v127, v123, v191 neg_lo:[1,1,0]
	v_dot4_i32_iu8 v159, v127, v124, v159 neg_lo:[1,1,0]
	;; [unrolled: 1-line block ×15, first 2 shown]
	s_wait_alu 0xfffe
	s_and_b32 s9, s14, s9
	s_and_b32 s5, s5, s6
	s_wait_alu 0xfffe
	s_and_b32 s6, s2, s9
	ds_load_b128 v[99:102], v40 offset:12288
	ds_load_b128 v[91:94], v41 offset:28672
	;; [unrolled: 1-line block ×14, first 2 shown]
	v_dot4_i32_iu8 v161, v127, v126, v161 neg_lo:[1,1,0]
	v_dot4_i32_iu8 v187, v128, v126, v194 neg_lo:[1,1,0]
	v_dot4_i32_iu8 v191, v129, v126, v198 neg_lo:[1,1,0]
	v_dot4_i32_iu8 v126, v130, v126, v3 neg_lo:[1,1,0]
	v_dot4_i32_iu8 v107, v127, v24, v107 neg_lo:[1,1,0]
	v_dot4_i32_iu8 v127, v127, v27, v12 neg_lo:[1,1,0]
	v_dot4_i32_iu8 v163, v128, v25, v163 neg_lo:[1,1,0]
	v_dot4_i32_iu8 v164, v128, v26, v164 neg_lo:[1,1,0]
	v_dot4_i32_iu8 v128, v128, v27, v13 neg_lo:[1,1,0]
	v_dot4_i32_iu8 v165, v129, v24, v165 neg_lo:[1,1,0]
	v_dot4_i32_iu8 v166, v129, v25, v166 neg_lo:[1,1,0]
	v_dot4_i32_iu8 v167, v129, v26, v167 neg_lo:[1,1,0]
	v_dot4_i32_iu8 v129, v129, v27, v14 neg_lo:[1,1,0]
	v_dot4_i32_iu8 v192, v130, v24, v4 neg_lo:[1,1,0]
	v_dot4_i32_iu8 v193, v130, v25, v5 neg_lo:[1,1,0]
	v_dot4_i32_iu8 v194, v130, v26, v6 neg_lo:[1,1,0]
	v_dot4_i32_iu8 v130, v130, v27, v7 neg_lo:[1,1,0]
	ds_load_b128 v[12:15], v41 offset:32000
	ds_load_b128 v[24:27], v40 offset:15616
	s_wait_dscnt 0x11
	v_dot4_i32_iu8 v195, v79, v83, v111 neg_lo:[1,1,0]
	v_dot4_i32_iu8 v112, v79, v84, v112 neg_lo:[1,1,0]
	;; [unrolled: 1-line block ×32, first 2 shown]
	ds_load_b128 v[0:3], v41 offset:32256
	ds_load_b128 v[4:7], v41 offset:32512
	s_wait_dscnt 0x12
	v_dot4_i32_iu8 v184, v87, v83, v184 neg_lo:[1,1,0]
	v_dot4_i32_iu8 v159, v87, v84, v159 neg_lo:[1,1,0]
	;; [unrolled: 1-line block ×15, first 2 shown]
	ds_load_b128 v[79:82], v40 offset:15872
	ds_load_b128 v[28:31], v40 offset:16128
	s_wait_loadcnt 0x1
	s_wait_alu 0xfffe
	v_cndmask_b32_e64 v108, 0, v23, s6
	v_cndmask_b32_e64 v109, 0, v22, s6
	;; [unrolled: 1-line block ×4, first 2 shown]
	ds_store_2addr_stride64_b32 v50, v72, v71 offset0:64 offset1:66
	ds_load_b128 v[20:23], v40 offset:15360
	ds_store_2addr_stride64_b32 v50, v70, v69 offset0:68 offset1:70
	ds_store_2addr_stride64_b32 v50, v74, v73 offset0:72 offset1:74
	ds_load_b128 v[69:72], v40 offset:12544
	v_dot4_i32_iu8 v161, v87, v86, v161 neg_lo:[1,1,0]
	v_dot4_i32_iu8 v187, v88, v86, v187 neg_lo:[1,1,0]
	;; [unrolled: 1-line block ×16, first 2 shown]
	s_wait_dscnt 0x17
	v_dot4_i32_iu8 v130, v99, v91, v195 neg_lo:[1,1,0]
	v_dot4_i32_iu8 v112, v99, v92, v112 neg_lo:[1,1,0]
	;; [unrolled: 1-line block ×16, first 2 shown]
	s_wait_dscnt 0x16
	v_dot4_i32_iu8 v173, v99, v95, v175 neg_lo:[1,1,0]
	v_dot4_i32_iu8 v174, v99, v96, v176 neg_lo:[1,1,0]
	;; [unrolled: 1-line block ×9, first 2 shown]
	ds_load_b128 v[73:76], v40 offset:12800
	s_wait_dscnt 0x1
	v_dot4_i32_iu8 v182, v69, v91, v184 neg_lo:[1,1,0]
	v_dot4_i32_iu8 v159, v69, v92, v159 neg_lo:[1,1,0]
	;; [unrolled: 1-line block ×16, first 2 shown]
	ds_load_b128 v[83:86], v40 offset:13056
	v_dot4_i32_iu8 v77, v90, v77, v194 neg_lo:[1,1,0]
	v_dot4_i32_iu8 v156, v100, v96, v156 neg_lo:[1,1,0]
	;; [unrolled: 1-line block ×20, first 2 shown]
	ds_load_b128 v[69:72], v40 offset:13312
	ds_load_b128 v[87:90], v40 offset:13568
	v_dot4_i32_iu8 v99, v99, v98, v196 neg_lo:[1,1,0]
	v_dot4_i32_iu8 v100, v100, v98, v197 neg_lo:[1,1,0]
	;; [unrolled: 1-line block ×4, first 2 shown]
	s_wait_dscnt 0x3
	v_dot4_i32_iu8 v129, v73, v103, v130 neg_lo:[1,1,0]
	v_dot4_i32_iu8 v112, v73, v104, v112 neg_lo:[1,1,0]
	v_dot4_i32_iu8 v113, v73, v105, v113 neg_lo:[1,1,0]
	v_dot4_i32_iu8 v114, v73, v106, v114 neg_lo:[1,1,0]
	v_dot4_i32_iu8 v130, v74, v103, v166 neg_lo:[1,1,0]
	v_dot4_i32_iu8 v165, v74, v104, v167 neg_lo:[1,1,0]
	v_dot4_i32_iu8 v166, v74, v105, v168 neg_lo:[1,1,0]
	v_dot4_i32_iu8 v167, v74, v106, v169 neg_lo:[1,1,0]
	v_dot4_i32_iu8 v151, v75, v103, v151 neg_lo:[1,1,0]
	v_dot4_i32_iu8 v152, v75, v104, v152 neg_lo:[1,1,0]
	v_dot4_i32_iu8 v153, v75, v105, v153 neg_lo:[1,1,0]
	v_dot4_i32_iu8 v154, v75, v106, v154 neg_lo:[1,1,0]
	v_dot4_i32_iu8 v155, v76, v103, v155 neg_lo:[1,1,0]
	v_dot4_i32_iu8 v168, v76, v104, v170 neg_lo:[1,1,0]
	v_dot4_i32_iu8 v169, v76, v105, v171 neg_lo:[1,1,0]
	v_dot4_i32_iu8 v170, v76, v106, v172 neg_lo:[1,1,0]
	v_dot4_i32_iu8 v171, v73, v115, v173 neg_lo:[1,1,0]
	v_dot4_i32_iu8 v172, v73, v116, v174 neg_lo:[1,1,0]
	v_dot4_i32_iu8 v173, v73, v117, v175 neg_lo:[1,1,0]
	v_dot4_i32_iu8 v99, v73, v118, v99 neg_lo:[1,1,0]
	v_dot4_i32_iu8 v174, v74, v115, v176 neg_lo:[1,1,0]
	v_dot4_i32_iu8 v156, v74, v116, v156 neg_lo:[1,1,0]
	v_dot4_i32_iu8 v175, v74, v117, v177 neg_lo:[1,1,0]
	v_dot4_i32_iu8 v100, v74, v118, v100 neg_lo:[1,1,0]
	v_dot4_i32_iu8 v176, v75, v115, v178 neg_lo:[1,1,0]
	v_dot4_i32_iu8 v157, v75, v116, v157 neg_lo:[1,1,0]
	v_dot4_i32_iu8 v177, v75, v117, v179 neg_lo:[1,1,0]
	v_dot4_i32_iu8 v101, v75, v118, v101 neg_lo:[1,1,0]
	v_dot4_i32_iu8 v178, v76, v115, v180 neg_lo:[1,1,0]
	v_dot4_i32_iu8 v158, v76, v116, v158 neg_lo:[1,1,0]
	v_dot4_i32_iu8 v179, v76, v117, v181 neg_lo:[1,1,0]
	v_dot4_i32_iu8 v102, v76, v118, v102 neg_lo:[1,1,0]
	ds_load_b128 v[73:76], v40 offset:13824
	s_wait_dscnt 0x3
	v_dot4_i32_iu8 v180, v83, v103, v182 neg_lo:[1,1,0]
	v_dot4_i32_iu8 v159, v83, v104, v159 neg_lo:[1,1,0]
	;; [unrolled: 1-line block ×16, first 2 shown]
	ds_load_b128 v[91:94], v40 offset:14080
	v_dot4_i32_iu8 v107, v83, v115, v107 neg_lo:[1,1,0]
	v_dot4_i32_iu8 v123, v83, v116, v123 neg_lo:[1,1,0]
	;; [unrolled: 1-line block ×16, first 2 shown]
	ds_load_b128 v[83:86], v40 offset:14336
	ds_load_b128 v[95:98], v40 offset:14592
	s_and_b32 s5, s12, s5
	s_wait_dscnt 0x5
	v_dot4_i32_iu8 v117, v69, v131, v129 neg_lo:[1,1,0]
	v_dot4_i32_iu8 v112, v69, v132, v112 neg_lo:[1,1,0]
	;; [unrolled: 1-line block ×32, first 2 shown]
	ds_load_b128 v[69:72], v40 offset:14848
	ds_load_b128 v[99:102], v40 offset:15104
	s_wait_alu 0xfffe
	s_and_b32 s5, s13, s5
	s_wait_dscnt 0x6
	v_dot4_i32_iu8 v180, v87, v131, v180 neg_lo:[1,1,0]
	s_wait_alu 0xfffe
	s_and_b32 s5, s2, s5
	v_dot4_i32_iu8 v159, v87, v132, v159 neg_lo:[1,1,0]
	v_dot4_i32_iu8 v160, v87, v133, v160 neg_lo:[1,1,0]
	;; [unrolled: 1-line block ×15, first 2 shown]
	ds_store_2addr_stride64_b32 v50, v68, v67 offset0:76 offset1:78
	s_wait_loadcnt 0x0
	s_wait_alu 0xfffe
	v_cndmask_b32_e64 v131, 0, v19, s5
	v_cndmask_b32_e64 v132, 0, v18, s5
	;; [unrolled: 1-line block ×4, first 2 shown]
	v_dot4_i32_iu8 v16, v87, v119, v107 neg_lo:[1,1,0]
	v_dot4_i32_iu8 v17, v87, v120, v123 neg_lo:[1,1,0]
	v_dot4_i32_iu8 v18, v87, v121, v124 neg_lo:[1,1,0]
	v_dot4_i32_iu8 v19, v87, v122, v188 neg_lo:[1,1,0]
	v_dot4_i32_iu8 v67, v88, v119, v125 neg_lo:[1,1,0]
	v_dot4_i32_iu8 v68, v88, v120, v126 neg_lo:[1,1,0]
	v_dot4_i32_iu8 v87, v88, v121, v127 neg_lo:[1,1,0]
	v_dot4_i32_iu8 v88, v88, v122, v189 neg_lo:[1,1,0]
	v_dot4_i32_iu8 v107, v89, v119, v128 neg_lo:[1,1,0]
	v_dot4_i32_iu8 v123, v89, v120, v163 neg_lo:[1,1,0]
	v_dot4_i32_iu8 v124, v89, v121, v164 neg_lo:[1,1,0]
	v_dot4_i32_iu8 v89, v89, v122, v190 neg_lo:[1,1,0]
	v_dot4_i32_iu8 v115, v90, v119, v115 neg_lo:[1,1,0]
	v_dot4_i32_iu8 v116, v90, v120, v116 neg_lo:[1,1,0]
	v_dot4_i32_iu8 v77, v90, v121, v77 neg_lo:[1,1,0]
	v_dot4_i32_iu8 v78, v90, v122, v78 neg_lo:[1,1,0]
	s_wait_dscnt 0x6
	v_dot4_i32_iu8 v90, v73, v135, v117 neg_lo:[1,1,0]
	v_dot4_i32_iu8 v112, v73, v136, v112 neg_lo:[1,1,0]
	v_dot4_i32_iu8 v113, v73, v137, v113 neg_lo:[1,1,0]
	v_dot4_i32_iu8 v114, v73, v138, v114 neg_lo:[1,1,0]
	v_dot4_i32_iu8 v117, v74, v135, v118 neg_lo:[1,1,0]
	v_dot4_i32_iu8 v118, v74, v136, v129 neg_lo:[1,1,0]
	v_dot4_i32_iu8 v119, v74, v137, v130 neg_lo:[1,1,0]
	v_dot4_i32_iu8 v120, v74, v138, v165 neg_lo:[1,1,0]
	v_dot4_i32_iu8 v121, v75, v135, v151 neg_lo:[1,1,0]
	v_dot4_i32_iu8 v122, v75, v136, v152 neg_lo:[1,1,0]
	v_dot4_i32_iu8 v125, v75, v137, v153 neg_lo:[1,1,0]
	v_dot4_i32_iu8 v126, v75, v138, v154 neg_lo:[1,1,0]
	v_dot4_i32_iu8 v127, v76, v135, v155 neg_lo:[1,1,0]
	v_dot4_i32_iu8 v128, v76, v136, v166 neg_lo:[1,1,0]
	v_dot4_i32_iu8 v129, v76, v137, v167 neg_lo:[1,1,0]
	v_dot4_i32_iu8 v130, v76, v138, v168 neg_lo:[1,1,0]
	v_dot4_i32_iu8 v151, v73, v139, v169 neg_lo:[1,1,0]
	v_dot4_i32_iu8 v152, v73, v140, v170 neg_lo:[1,1,0]
	v_dot4_i32_iu8 v153, v73, v141, v171 neg_lo:[1,1,0]
	v_dot4_i32_iu8 v73, v73, v142, v172 neg_lo:[1,1,0]
	v_dot4_i32_iu8 v154, v74, v139, v173 neg_lo:[1,1,0]
	v_dot4_i32_iu8 v155, v74, v140, v156 neg_lo:[1,1,0]
	v_dot4_i32_iu8 v156, v74, v141, v174 neg_lo:[1,1,0]
	v_dot4_i32_iu8 v74, v74, v142, v175 neg_lo:[1,1,0]
	v_dot4_i32_iu8 v163, v75, v139, v176 neg_lo:[1,1,0]
	v_dot4_i32_iu8 v157, v75, v140, v157 neg_lo:[1,1,0]
	v_dot4_i32_iu8 v164, v75, v141, v177 neg_lo:[1,1,0]
	v_dot4_i32_iu8 v75, v75, v142, v191 neg_lo:[1,1,0]
	v_dot4_i32_iu8 v165, v76, v139, v178 neg_lo:[1,1,0]
	v_dot4_i32_iu8 v158, v76, v140, v158 neg_lo:[1,1,0]
	v_dot4_i32_iu8 v166, v76, v141, v179 neg_lo:[1,1,0]
	v_dot4_i32_iu8 v76, v76, v142, v192 neg_lo:[1,1,0]
	s_wait_dscnt 0x5
	v_dot4_i32_iu8 v167, v91, v135, v180 neg_lo:[1,1,0]
	v_dot4_i32_iu8 v159, v91, v136, v159 neg_lo:[1,1,0]
	v_dot4_i32_iu8 v160, v91, v137, v160 neg_lo:[1,1,0]
	v_dot4_i32_iu8 v161, v91, v138, v161 neg_lo:[1,1,0]
	v_dot4_i32_iu8 v162, v92, v135, v162 neg_lo:[1,1,0]
	v_dot4_i32_iu8 v168, v92, v136, v181 neg_lo:[1,1,0]
	v_dot4_i32_iu8 v169, v92, v137, v182 neg_lo:[1,1,0]
	v_dot4_i32_iu8 v170, v92, v138, v183 neg_lo:[1,1,0]
	v_dot4_i32_iu8 v171, v93, v135, v184 neg_lo:[1,1,0]
	v_dot4_i32_iu8 v172, v93, v136, v185 neg_lo:[1,1,0]
	v_dot4_i32_iu8 v173, v93, v137, v186 neg_lo:[1,1,0]
	v_dot4_i32_iu8 v174, v93, v138, v187 neg_lo:[1,1,0]
	v_dot4_i32_iu8 v103, v94, v135, v103 neg_lo:[1,1,0]
	v_dot4_i32_iu8 v104, v94, v136, v104 neg_lo:[1,1,0]
	v_dot4_i32_iu8 v105, v94, v137, v105 neg_lo:[1,1,0]
	v_dot4_i32_iu8 v106, v94, v138, v106 neg_lo:[1,1,0]
	;; [unrolled: 33-line block ×6, first 2 shown]
	v_dot4_i32_iu8 v16, v99, v36, v16 neg_lo:[1,1,0]
	v_dot4_i32_iu8 v17, v99, v37, v17 neg_lo:[1,1,0]
	;; [unrolled: 1-line block ×80, first 2 shown]
	v_add_nc_u32_e32 v51, s60, v51
	v_add_nc_u32_e32 v52, s60, v52
	;; [unrolled: 1-line block ×8, first 2 shown]
	v_dot4_i32_iu8 v107, v79, v0, v77 neg_lo:[1,1,0]
	v_dot4_i32_iu8 v106, v79, v1, v78 neg_lo:[1,1,0]
	;; [unrolled: 1-line block ×64, first 2 shown]
	s_add_co_i32 s24, s24, 32
	s_add_co_i32 s21, s21, s62
	s_wait_alu 0xfffe
	s_cmp_lt_i32 s24, s58
	ds_store_2addr_stride64_b32 v50, v111, v110 offset1:2
	ds_store_2addr_stride64_b32 v50, v109, v108 offset0:4 offset1:6
	ds_store_2addr_stride64_b32 v50, v134, v133 offset0:8 offset1:10
	;; [unrolled: 1-line block ×3, first 2 shown]
	s_cbranch_scc1 .LBB10_1
; %bb.2:
	s_wait_dscnt 0x0
	s_barrier_signal -1
	s_barrier_wait -1
	global_inv scope:SCOPE_SE
	ds_load_b128 v[0:3], v40
	ds_load_b128 v[4:7], v41 offset:16384
	ds_load_b128 v[8:11], v41 offset:16640
	;; [unrolled: 1-line block ×4, first 2 shown]
	s_load_b64 s[0:1], s[0:1], 0x10
	s_mul_u64 s[4:5], s[16:17], s[68:69]
	s_mov_b32 s27, 0x31004000
	s_mul_u64 s[2:3], s[18:19], s[68:69]
	s_wait_alu 0xfffe
	s_add_nc_u64 s[20:21], s[74:75], s[2:3]
	s_lshl_b32 s2, s73, 7
	s_lshl_b32 s3, s35, 6
	s_wait_alu 0xfffe
	s_and_b32 s21, s21, 0xffff
	s_wait_dscnt 0x2
	v_dot4_i32_iu8 v63, v0, v8, v99 neg_lo:[1,1,0]
	v_dot4_i32_iu8 v31, v0, v4, v107 neg_lo:[1,1,0]
	;; [unrolled: 1-line block ×32, first 2 shown]
	ds_load_b128 v[0:3], v40 offset:512
	s_wait_dscnt 0x2
	v_dot4_i32_iu8 v71, v12, v4, v71 neg_lo:[1,1,0]
	v_dot4_i32_iu8 v70, v12, v5, v70 neg_lo:[1,1,0]
	;; [unrolled: 1-line block ×30, first 2 shown]
	ds_load_b128 v[4:7], v41 offset:17152
	v_dot4_i32_iu8 v28, v15, v10, v28 neg_lo:[1,1,0]
	v_dot4_i32_iu8 v29, v15, v11, v29 neg_lo:[1,1,0]
	ds_load_b128 v[8:11], v40 offset:768
	s_wait_dscnt 0x2
	v_dot4_i32_iu8 v31, v0, v44, v31 neg_lo:[1,1,0]
	v_dot4_i32_iu8 v48, v0, v45, v48 neg_lo:[1,1,0]
	;; [unrolled: 1-line block ×16, first 2 shown]
	s_wait_dscnt 0x1
	v_dot4_i32_iu8 v63, v0, v4, v63 neg_lo:[1,1,0]
	v_dot4_i32_iu8 v64, v0, v5, v64 neg_lo:[1,1,0]
	;; [unrolled: 1-line block ×16, first 2 shown]
	ds_load_b128 v[0:3], v40 offset:1024
	s_wait_dscnt 0x1
	v_dot4_i32_iu8 v71, v8, v44, v71 neg_lo:[1,1,0]
	v_dot4_i32_iu8 v70, v8, v45, v70 neg_lo:[1,1,0]
	;; [unrolled: 1-line block ×15, first 2 shown]
	ds_load_b128 v[12:15], v41 offset:17408
	v_dot4_i32_iu8 v46, v11, v47, v79 neg_lo:[1,1,0]
	v_dot4_i32_iu8 v36, v8, v4, v36 neg_lo:[1,1,0]
	;; [unrolled: 1-line block ×15, first 2 shown]
	ds_load_b128 v[16:19], v41 offset:17664
	v_dot4_i32_iu8 v28, v11, v6, v28 neg_lo:[1,1,0]
	v_dot4_i32_iu8 v29, v11, v7, v29 neg_lo:[1,1,0]
	ds_load_b128 v[4:7], v40 offset:1280
	s_wait_dscnt 0x2
	v_dot4_i32_iu8 v31, v0, v12, v31 neg_lo:[1,1,0]
	v_dot4_i32_iu8 v48, v0, v13, v48 neg_lo:[1,1,0]
	;; [unrolled: 1-line block ×16, first 2 shown]
	s_wait_dscnt 0x1
	v_dot4_i32_iu8 v63, v0, v16, v63 neg_lo:[1,1,0]
	v_dot4_i32_iu8 v64, v0, v17, v64 neg_lo:[1,1,0]
	;; [unrolled: 1-line block ×16, first 2 shown]
	ds_load_b128 v[0:3], v40 offset:1536
	s_wait_dscnt 0x1
	v_dot4_i32_iu8 v71, v4, v12, v71 neg_lo:[1,1,0]
	v_dot4_i32_iu8 v70, v4, v13, v70 neg_lo:[1,1,0]
	;; [unrolled: 1-line block ×15, first 2 shown]
	ds_load_b128 v[8:11], v41 offset:17920
	v_dot4_i32_iu8 v46, v7, v15, v46 neg_lo:[1,1,0]
	v_dot4_i32_iu8 v36, v4, v16, v36 neg_lo:[1,1,0]
	;; [unrolled: 1-line block ×15, first 2 shown]
	ds_load_b128 v[12:15], v41 offset:18176
	v_dot4_i32_iu8 v28, v7, v18, v28 neg_lo:[1,1,0]
	v_dot4_i32_iu8 v29, v7, v19, v29 neg_lo:[1,1,0]
	ds_load_b128 v[4:7], v40 offset:1792
	s_wait_dscnt 0x2
	v_dot4_i32_iu8 v31, v0, v8, v31 neg_lo:[1,1,0]
	v_dot4_i32_iu8 v48, v0, v9, v48 neg_lo:[1,1,0]
	;; [unrolled: 1-line block ×16, first 2 shown]
	s_wait_dscnt 0x1
	v_dot4_i32_iu8 v63, v0, v12, v63 neg_lo:[1,1,0]
	v_dot4_i32_iu8 v64, v0, v13, v64 neg_lo:[1,1,0]
	;; [unrolled: 1-line block ×16, first 2 shown]
	ds_load_b128 v[0:3], v40 offset:2048
	s_wait_dscnt 0x1
	v_dot4_i32_iu8 v71, v4, v8, v71 neg_lo:[1,1,0]
	v_dot4_i32_iu8 v70, v4, v9, v70 neg_lo:[1,1,0]
	;; [unrolled: 1-line block ×15, first 2 shown]
	ds_load_b128 v[16:19], v41 offset:18432
	v_dot4_i32_iu8 v46, v7, v11, v46 neg_lo:[1,1,0]
	v_dot4_i32_iu8 v36, v4, v12, v36 neg_lo:[1,1,0]
	;; [unrolled: 1-line block ×15, first 2 shown]
	ds_load_b128 v[8:11], v41 offset:18688
	v_dot4_i32_iu8 v28, v7, v14, v28 neg_lo:[1,1,0]
	v_dot4_i32_iu8 v29, v7, v15, v29 neg_lo:[1,1,0]
	ds_load_b128 v[4:7], v40 offset:2304
	s_wait_dscnt 0x2
	v_dot4_i32_iu8 v31, v0, v16, v31 neg_lo:[1,1,0]
	v_dot4_i32_iu8 v48, v0, v17, v48 neg_lo:[1,1,0]
	;; [unrolled: 1-line block ×16, first 2 shown]
	s_wait_dscnt 0x1
	v_dot4_i32_iu8 v63, v0, v8, v63 neg_lo:[1,1,0]
	v_dot4_i32_iu8 v64, v0, v9, v64 neg_lo:[1,1,0]
	;; [unrolled: 1-line block ×16, first 2 shown]
	ds_load_b128 v[0:3], v40 offset:2560
	s_wait_dscnt 0x1
	v_dot4_i32_iu8 v71, v4, v16, v71 neg_lo:[1,1,0]
	v_dot4_i32_iu8 v70, v4, v17, v70 neg_lo:[1,1,0]
	;; [unrolled: 1-line block ×15, first 2 shown]
	ds_load_b128 v[12:15], v41 offset:18944
	v_dot4_i32_iu8 v46, v7, v19, v46 neg_lo:[1,1,0]
	v_dot4_i32_iu8 v36, v4, v8, v36 neg_lo:[1,1,0]
	;; [unrolled: 1-line block ×15, first 2 shown]
	ds_load_b128 v[16:19], v41 offset:19200
	v_dot4_i32_iu8 v28, v7, v10, v28 neg_lo:[1,1,0]
	v_dot4_i32_iu8 v29, v7, v11, v29 neg_lo:[1,1,0]
	ds_load_b128 v[4:7], v40 offset:2816
	s_wait_dscnt 0x2
	v_dot4_i32_iu8 v31, v0, v12, v31 neg_lo:[1,1,0]
	v_dot4_i32_iu8 v48, v0, v13, v48 neg_lo:[1,1,0]
	;; [unrolled: 1-line block ×16, first 2 shown]
	s_wait_dscnt 0x1
	v_dot4_i32_iu8 v63, v0, v16, v63 neg_lo:[1,1,0]
	v_dot4_i32_iu8 v64, v0, v17, v64 neg_lo:[1,1,0]
	v_dot4_i32_iu8 v65, v0, v18, v65 neg_lo:[1,1,0]
	v_dot4_i32_iu8 v66, v0, v19, v66 neg_lo:[1,1,0]
	v_dot4_i32_iu8 v84, v1, v16, v84 neg_lo:[1,1,0]
	v_dot4_i32_iu8 v85, v1, v17, v85 neg_lo:[1,1,0]
	v_dot4_i32_iu8 v86, v1, v18, v86 neg_lo:[1,1,0]
	v_dot4_i32_iu8 v87, v1, v19, v87 neg_lo:[1,1,0]
	v_dot4_i32_iu8 v83, v2, v16, v83 neg_lo:[1,1,0]
	v_dot4_i32_iu8 v80, v2, v17, v80 neg_lo:[1,1,0]
	v_dot4_i32_iu8 v78, v2, v18, v78 neg_lo:[1,1,0]
	v_dot4_i32_iu8 v77, v2, v19, v77 neg_lo:[1,1,0]
	v_dot4_i32_iu8 v76, v3, v16, v76 neg_lo:[1,1,0]
	v_dot4_i32_iu8 v75, v3, v17, v75 neg_lo:[1,1,0]
	v_dot4_i32_iu8 v74, v3, v18, v74 neg_lo:[1,1,0]
	v_dot4_i32_iu8 v72, v3, v19, v72 neg_lo:[1,1,0]
	ds_load_b128 v[0:3], v40 offset:3072
	s_wait_dscnt 0x1
	v_dot4_i32_iu8 v71, v4, v12, v71 neg_lo:[1,1,0]
	v_dot4_i32_iu8 v70, v4, v13, v70 neg_lo:[1,1,0]
	;; [unrolled: 1-line block ×15, first 2 shown]
	ds_load_b128 v[8:11], v41 offset:19456
	v_dot4_i32_iu8 v46, v7, v15, v46 neg_lo:[1,1,0]
	v_dot4_i32_iu8 v36, v4, v16, v36 neg_lo:[1,1,0]
	v_dot4_i32_iu8 v34, v4, v17, v34 neg_lo:[1,1,0]
	v_dot4_i32_iu8 v32, v4, v18, v32 neg_lo:[1,1,0]
	v_dot4_i32_iu8 v26, v4, v19, v26 neg_lo:[1,1,0]
	v_dot4_i32_iu8 v24, v5, v16, v24 neg_lo:[1,1,0]
	v_dot4_i32_iu8 v22, v5, v17, v22 neg_lo:[1,1,0]
	v_dot4_i32_iu8 v21, v5, v18, v21 neg_lo:[1,1,0]
	v_dot4_i32_iu8 v20, v5, v19, v20 neg_lo:[1,1,0]
	v_dot4_i32_iu8 v47, v6, v16, v47 neg_lo:[1,1,0]
	v_dot4_i32_iu8 v79, v6, v17, v79 neg_lo:[1,1,0]
	v_dot4_i32_iu8 v81, v6, v18, v81 neg_lo:[1,1,0]
	v_dot4_i32_iu8 v82, v6, v19, v82 neg_lo:[1,1,0]
	v_dot4_i32_iu8 v30, v7, v16, v30 neg_lo:[1,1,0]
	v_dot4_i32_iu8 v73, v7, v17, v73 neg_lo:[1,1,0]
	ds_load_b128 v[12:15], v41 offset:19712
	v_dot4_i32_iu8 v28, v7, v18, v28 neg_lo:[1,1,0]
	v_dot4_i32_iu8 v29, v7, v19, v29 neg_lo:[1,1,0]
	ds_load_b128 v[4:7], v40 offset:3328
	s_wait_dscnt 0x2
	v_dot4_i32_iu8 v31, v0, v8, v31 neg_lo:[1,1,0]
	v_dot4_i32_iu8 v48, v0, v9, v48 neg_lo:[1,1,0]
	;; [unrolled: 1-line block ×16, first 2 shown]
	s_wait_dscnt 0x1
	v_dot4_i32_iu8 v63, v0, v12, v63 neg_lo:[1,1,0]
	v_dot4_i32_iu8 v64, v0, v13, v64 neg_lo:[1,1,0]
	;; [unrolled: 1-line block ×16, first 2 shown]
	ds_load_b128 v[0:3], v40 offset:3584
	s_wait_dscnt 0x1
	v_dot4_i32_iu8 v71, v4, v8, v71 neg_lo:[1,1,0]
	v_dot4_i32_iu8 v70, v4, v9, v70 neg_lo:[1,1,0]
	;; [unrolled: 1-line block ×15, first 2 shown]
	ds_load_b128 v[16:19], v41 offset:19968
	v_dot4_i32_iu8 v46, v7, v11, v46 neg_lo:[1,1,0]
	v_dot4_i32_iu8 v36, v4, v12, v36 neg_lo:[1,1,0]
	v_dot4_i32_iu8 v34, v4, v13, v34 neg_lo:[1,1,0]
	v_dot4_i32_iu8 v32, v4, v14, v32 neg_lo:[1,1,0]
	v_dot4_i32_iu8 v26, v4, v15, v26 neg_lo:[1,1,0]
	v_dot4_i32_iu8 v24, v5, v12, v24 neg_lo:[1,1,0]
	v_dot4_i32_iu8 v22, v5, v13, v22 neg_lo:[1,1,0]
	v_dot4_i32_iu8 v21, v5, v14, v21 neg_lo:[1,1,0]
	v_dot4_i32_iu8 v20, v5, v15, v20 neg_lo:[1,1,0]
	v_dot4_i32_iu8 v47, v6, v12, v47 neg_lo:[1,1,0]
	v_dot4_i32_iu8 v79, v6, v13, v79 neg_lo:[1,1,0]
	v_dot4_i32_iu8 v81, v6, v14, v81 neg_lo:[1,1,0]
	v_dot4_i32_iu8 v82, v6, v15, v82 neg_lo:[1,1,0]
	v_dot4_i32_iu8 v30, v7, v12, v30 neg_lo:[1,1,0]
	v_dot4_i32_iu8 v73, v7, v13, v73 neg_lo:[1,1,0]
	ds_load_b128 v[8:11], v41 offset:20224
	v_dot4_i32_iu8 v28, v7, v14, v28 neg_lo:[1,1,0]
	v_dot4_i32_iu8 v29, v7, v15, v29 neg_lo:[1,1,0]
	ds_load_b128 v[4:7], v40 offset:3840
	s_wait_dscnt 0x2
	v_dot4_i32_iu8 v31, v0, v16, v31 neg_lo:[1,1,0]
	v_dot4_i32_iu8 v48, v0, v17, v48 neg_lo:[1,1,0]
	;; [unrolled: 1-line block ×16, first 2 shown]
	s_wait_dscnt 0x1
	v_dot4_i32_iu8 v63, v0, v8, v63 neg_lo:[1,1,0]
	v_dot4_i32_iu8 v64, v0, v9, v64 neg_lo:[1,1,0]
	;; [unrolled: 1-line block ×16, first 2 shown]
	ds_load_b128 v[0:3], v40 offset:4096
	s_wait_dscnt 0x1
	v_dot4_i32_iu8 v71, v4, v16, v71 neg_lo:[1,1,0]
	v_dot4_i32_iu8 v70, v4, v17, v70 neg_lo:[1,1,0]
	;; [unrolled: 1-line block ×15, first 2 shown]
	ds_load_b128 v[12:15], v41 offset:20480
	v_dot4_i32_iu8 v46, v7, v19, v46 neg_lo:[1,1,0]
	v_dot4_i32_iu8 v36, v4, v8, v36 neg_lo:[1,1,0]
	v_dot4_i32_iu8 v34, v4, v9, v34 neg_lo:[1,1,0]
	v_dot4_i32_iu8 v32, v4, v10, v32 neg_lo:[1,1,0]
	v_dot4_i32_iu8 v26, v4, v11, v26 neg_lo:[1,1,0]
	v_dot4_i32_iu8 v24, v5, v8, v24 neg_lo:[1,1,0]
	v_dot4_i32_iu8 v22, v5, v9, v22 neg_lo:[1,1,0]
	v_dot4_i32_iu8 v21, v5, v10, v21 neg_lo:[1,1,0]
	v_dot4_i32_iu8 v20, v5, v11, v20 neg_lo:[1,1,0]
	v_dot4_i32_iu8 v47, v6, v8, v47 neg_lo:[1,1,0]
	v_dot4_i32_iu8 v79, v6, v9, v79 neg_lo:[1,1,0]
	v_dot4_i32_iu8 v81, v6, v10, v81 neg_lo:[1,1,0]
	v_dot4_i32_iu8 v82, v6, v11, v82 neg_lo:[1,1,0]
	v_dot4_i32_iu8 v30, v7, v8, v30 neg_lo:[1,1,0]
	v_dot4_i32_iu8 v73, v7, v9, v73 neg_lo:[1,1,0]
	ds_load_b128 v[16:19], v41 offset:20736
	v_dot4_i32_iu8 v28, v7, v10, v28 neg_lo:[1,1,0]
	v_dot4_i32_iu8 v29, v7, v11, v29 neg_lo:[1,1,0]
	ds_load_b128 v[4:7], v40 offset:4352
	s_wait_dscnt 0x2
	v_dot4_i32_iu8 v31, v0, v12, v31 neg_lo:[1,1,0]
	v_dot4_i32_iu8 v48, v0, v13, v48 neg_lo:[1,1,0]
	;; [unrolled: 1-line block ×16, first 2 shown]
	s_wait_dscnt 0x1
	v_dot4_i32_iu8 v63, v0, v16, v63 neg_lo:[1,1,0]
	v_dot4_i32_iu8 v64, v0, v17, v64 neg_lo:[1,1,0]
	;; [unrolled: 1-line block ×16, first 2 shown]
	ds_load_b128 v[0:3], v40 offset:4608
	s_wait_dscnt 0x1
	v_dot4_i32_iu8 v71, v4, v12, v71 neg_lo:[1,1,0]
	v_dot4_i32_iu8 v70, v4, v13, v70 neg_lo:[1,1,0]
	;; [unrolled: 1-line block ×15, first 2 shown]
	ds_load_b128 v[8:11], v41 offset:20992
	v_dot4_i32_iu8 v46, v7, v15, v46 neg_lo:[1,1,0]
	v_dot4_i32_iu8 v36, v4, v16, v36 neg_lo:[1,1,0]
	;; [unrolled: 1-line block ×15, first 2 shown]
	ds_load_b128 v[12:15], v41 offset:21248
	v_dot4_i32_iu8 v28, v7, v18, v28 neg_lo:[1,1,0]
	v_dot4_i32_iu8 v29, v7, v19, v29 neg_lo:[1,1,0]
	ds_load_b128 v[4:7], v40 offset:4864
	s_wait_dscnt 0x2
	v_dot4_i32_iu8 v31, v0, v8, v31 neg_lo:[1,1,0]
	v_dot4_i32_iu8 v48, v0, v9, v48 neg_lo:[1,1,0]
	;; [unrolled: 1-line block ×16, first 2 shown]
	s_wait_dscnt 0x1
	v_dot4_i32_iu8 v63, v0, v12, v63 neg_lo:[1,1,0]
	v_dot4_i32_iu8 v64, v0, v13, v64 neg_lo:[1,1,0]
	;; [unrolled: 1-line block ×16, first 2 shown]
	ds_load_b128 v[0:3], v40 offset:5120
	s_wait_dscnt 0x1
	v_dot4_i32_iu8 v71, v4, v8, v71 neg_lo:[1,1,0]
	v_dot4_i32_iu8 v70, v4, v9, v70 neg_lo:[1,1,0]
	;; [unrolled: 1-line block ×15, first 2 shown]
	ds_load_b128 v[16:19], v41 offset:21504
	v_dot4_i32_iu8 v46, v7, v11, v46 neg_lo:[1,1,0]
	v_dot4_i32_iu8 v36, v4, v12, v36 neg_lo:[1,1,0]
	;; [unrolled: 1-line block ×15, first 2 shown]
	ds_load_b128 v[8:11], v41 offset:21760
	v_dot4_i32_iu8 v28, v7, v14, v28 neg_lo:[1,1,0]
	v_dot4_i32_iu8 v29, v7, v15, v29 neg_lo:[1,1,0]
	ds_load_b128 v[4:7], v40 offset:5376
	ds_load_b128 v[12:15], v41 offset:22016
	s_wait_kmcnt 0x0
	s_add_nc_u64 s[24:25], s[0:1], s[4:5]
	s_lshl_b32 s0, s73, 6
	s_wait_alu 0xfffe
	s_and_b32 s25, s25, 0xffff
	s_add_co_i32 s1, s0, s72
	s_delay_alu instid0(SALU_CYCLE_1)
	s_sub_co_i32 s1, s1, s2
	s_mul_i32 s2, s72, 60
	s_wait_dscnt 0x2
	v_dot4_i32_iu8 v63, v0, v8, v63 neg_lo:[1,1,0]
	v_dot4_i32_iu8 v64, v0, v9, v64 neg_lo:[1,1,0]
	;; [unrolled: 1-line block ×16, first 2 shown]
	s_wait_dscnt 0x1
	v_dot4_i32_iu8 v36, v4, v8, v36 neg_lo:[1,1,0]
	v_dot4_i32_iu8 v34, v4, v9, v34 neg_lo:[1,1,0]
	v_dot4_i32_iu8 v32, v4, v10, v32 neg_lo:[1,1,0]
	v_dot4_i32_iu8 v26, v4, v11, v26 neg_lo:[1,1,0]
	v_dot4_i32_iu8 v24, v5, v8, v24 neg_lo:[1,1,0]
	v_dot4_i32_iu8 v22, v5, v9, v22 neg_lo:[1,1,0]
	v_dot4_i32_iu8 v88, v5, v10, v21 neg_lo:[1,1,0]
	v_dot4_i32_iu8 v89, v5, v11, v20 neg_lo:[1,1,0]
	v_dot4_i32_iu8 v47, v6, v8, v47 neg_lo:[1,1,0]
	v_dot4_i32_iu8 v79, v6, v9, v79 neg_lo:[1,1,0]
	v_dot4_i32_iu8 v81, v6, v10, v81 neg_lo:[1,1,0]
	v_dot4_i32_iu8 v82, v6, v11, v82 neg_lo:[1,1,0]
	v_dot4_i32_iu8 v30, v7, v8, v30 neg_lo:[1,1,0]
	v_dot4_i32_iu8 v73, v7, v9, v73 neg_lo:[1,1,0]
	v_dot4_i32_iu8 v28, v7, v10, v28 neg_lo:[1,1,0]
	v_dot4_i32_iu8 v29, v7, v11, v29 neg_lo:[1,1,0]
	ds_load_b128 v[8:11], v40 offset:6144
	v_dot4_i32_iu8 v31, v0, v16, v31 neg_lo:[1,1,0]
	v_dot4_i32_iu8 v48, v0, v17, v48 neg_lo:[1,1,0]
	v_dot4_i32_iu8 v49, v0, v18, v49 neg_lo:[1,1,0]
	v_dot4_i32_iu8 v50, v0, v19, v50 neg_lo:[1,1,0]
	v_dot4_i32_iu8 v51, v1, v16, v51 neg_lo:[1,1,0]
	v_dot4_i32_iu8 v52, v1, v17, v52 neg_lo:[1,1,0]
	v_dot4_i32_iu8 v53, v1, v18, v53 neg_lo:[1,1,0]
	v_dot4_i32_iu8 v54, v1, v19, v54 neg_lo:[1,1,0]
	v_dot4_i32_iu8 v55, v2, v16, v55 neg_lo:[1,1,0]
	v_dot4_i32_iu8 v56, v2, v17, v56 neg_lo:[1,1,0]
	v_dot4_i32_iu8 v57, v2, v18, v57 neg_lo:[1,1,0]
	v_dot4_i32_iu8 v58, v2, v19, v58 neg_lo:[1,1,0]
	v_dot4_i32_iu8 v59, v3, v16, v59 neg_lo:[1,1,0]
	v_dot4_i32_iu8 v60, v3, v17, v60 neg_lo:[1,1,0]
	v_dot4_i32_iu8 v61, v3, v18, v61 neg_lo:[1,1,0]
	v_dot4_i32_iu8 v62, v3, v19, v62 neg_lo:[1,1,0]
	ds_load_b128 v[0:3], v40 offset:5632
	;; [unrolled: 17-line block ×3, first 2 shown]
	ds_load_b128 v[4:7], v40 offset:5888
	s_wait_dscnt 0x2
	v_dot4_i32_iu8 v31, v0, v12, v31 neg_lo:[1,1,0]
	v_dot4_i32_iu8 v48, v0, v13, v48 neg_lo:[1,1,0]
	;; [unrolled: 1-line block ×16, first 2 shown]
	s_wait_dscnt 0x1
	v_dot4_i32_iu8 v63, v0, v16, v63 neg_lo:[1,1,0]
	v_dot4_i32_iu8 v64, v0, v17, v64 neg_lo:[1,1,0]
	v_dot4_i32_iu8 v65, v0, v18, v65 neg_lo:[1,1,0]
	v_dot4_i32_iu8 v66, v0, v19, v66 neg_lo:[1,1,0]
	v_lshl_or_b32 v0, s47, 7, v43
	v_dot4_i32_iu8 v83, v2, v16, v83 neg_lo:[1,1,0]
	v_dot4_i32_iu8 v80, v2, v17, v80 neg_lo:[1,1,0]
	;; [unrolled: 1-line block ×4, first 2 shown]
	v_mul_lo_u32 v2, v0, s72
	v_dot4_i32_iu8 v84, v1, v16, v84 neg_lo:[1,1,0]
	v_dot4_i32_iu8 v85, v1, v17, v85 neg_lo:[1,1,0]
	;; [unrolled: 1-line block ×4, first 2 shown]
	v_lshl_add_u32 v1, s51, 7, v42
	s_wait_dscnt 0x0
	v_dot4_i32_iu8 v43, v4, v12, v71 neg_lo:[1,1,0]
	v_dot4_i32_iu8 v70, v4, v13, v70 neg_lo:[1,1,0]
	;; [unrolled: 1-line block ×4, first 2 shown]
	v_mad_co_u64_u32 v[20:21], null, v1, s73, v[2:3]
	v_dot4_i32_iu8 v36, v4, v16, v36 neg_lo:[1,1,0]
	v_dot4_i32_iu8 v34, v4, v17, v34 neg_lo:[1,1,0]
	;; [unrolled: 1-line block ×6, first 2 shown]
	buffer_load_b32 v2, v20, s[24:27], null offen
	v_add_nc_u32_e32 v4, s0, v20
	v_dot4_i32_iu8 v74, v3, v18, v74 neg_lo:[1,1,0]
	v_dot4_i32_iu8 v72, v3, v19, v72 neg_lo:[1,1,0]
	;; [unrolled: 1-line block ×4, first 2 shown]
	buffer_load_b32 v3, v4, s[24:27], null offen
	v_dot4_i32_iu8 v38, v5, v14, v38 neg_lo:[1,1,0]
	v_dot4_i32_iu8 v37, v5, v15, v37 neg_lo:[1,1,0]
	;; [unrolled: 1-line block ×6, first 2 shown]
	v_add_nc_u32_e32 v5, s1, v4
	v_dot4_i32_iu8 v35, v6, v12, v35 neg_lo:[1,1,0]
	v_dot4_i32_iu8 v33, v6, v13, v33 neg_lo:[1,1,0]
	;; [unrolled: 1-line block ×8, first 2 shown]
	ds_load_b128 v[12:15], v41 offset:22528
	v_dot4_i32_iu8 v47, v6, v16, v47 neg_lo:[1,1,0]
	v_dot4_i32_iu8 v79, v6, v17, v79 neg_lo:[1,1,0]
	;; [unrolled: 1-line block ×8, first 2 shown]
	ds_load_b128 v[16:19], v41 offset:22784
	ds_load_b128 v[20:23], v40 offset:6400
	buffer_load_b32 v4, v5, s[24:27], null offen
	v_add_nc_u32_e32 v6, s0, v5
	v_cmp_gt_i32_e32 vcc_lo, s33, v1
	buffer_load_b32 v5, v6, s[24:27], null offen
	s_wait_dscnt 0x2
	v_dot4_i32_iu8 v29, v8, v12, v31 neg_lo:[1,1,0]
	v_dot4_i32_iu8 v31, v8, v13, v48 neg_lo:[1,1,0]
	;; [unrolled: 1-line block ×16, first 2 shown]
	s_wait_dscnt 0x1
	v_dot4_i32_iu8 v62, v8, v16, v63 neg_lo:[1,1,0]
	v_dot4_i32_iu8 v63, v8, v17, v64 neg_lo:[1,1,0]
	;; [unrolled: 1-line block ×8, first 2 shown]
	v_add_nc_u32_e32 v87, s1, v6
	s_wait_dscnt 0x0
	v_dot4_i32_iu8 v90, v23, v19, v7 neg_lo:[1,1,0]
	v_dot4_i32_iu8 v83, v10, v16, v83 neg_lo:[1,1,0]
	;; [unrolled: 1-line block ×4, first 2 shown]
	buffer_load_b32 v6, v87, s[24:27], null offen
	v_add_nc_u32_e32 v87, s0, v87
	v_dot4_i32_iu8 v77, v10, v19, v77 neg_lo:[1,1,0]
	v_dot4_i32_iu8 v76, v11, v16, v76 neg_lo:[1,1,0]
	;; [unrolled: 1-line block ×4, first 2 shown]
	buffer_load_b32 v7, v87, s[24:27], null offen
	v_add_nc_u32_e32 v87, s1, v87
	v_dot4_i32_iu8 v72, v11, v19, v72 neg_lo:[1,1,0]
	ds_load_b128 v[8:11], v40 offset:6656
	v_dot4_i32_iu8 v43, v20, v12, v43 neg_lo:[1,1,0]
	v_dot4_i32_iu8 v70, v20, v13, v70 neg_lo:[1,1,0]
	buffer_load_b32 v91, v87, s[24:27], null offen
	v_add_nc_u32_e32 v87, s0, v87
	v_dot4_i32_iu8 v69, v20, v14, v69 neg_lo:[1,1,0]
	v_dot4_i32_iu8 v68, v20, v15, v68 neg_lo:[1,1,0]
	;; [unrolled: 1-line block ×4, first 2 shown]
	buffer_load_b32 v92, v87, s[24:27], null offen
	v_add3_u32 v87, s1, s2, v87
	v_dot4_i32_iu8 v38, v21, v14, v38 neg_lo:[1,1,0]
	v_dot4_i32_iu8 v37, v21, v15, v37 neg_lo:[1,1,0]
	v_dot4_i32_iu8 v35, v22, v12, v35 neg_lo:[1,1,0]
	v_dot4_i32_iu8 v33, v22, v13, v33 neg_lo:[1,1,0]
	buffer_load_b32 v93, v87, s[24:27], null offen
	v_dot4_i32_iu8 v27, v22, v14, v27 neg_lo:[1,1,0]
	v_dot4_i32_iu8 v25, v22, v15, v25 neg_lo:[1,1,0]
	;; [unrolled: 1-line block ×6, first 2 shown]
	ds_load_b128 v[12:15], v41 offset:23040
	v_dot4_i32_iu8 v36, v20, v16, v36 neg_lo:[1,1,0]
	v_dot4_i32_iu8 v34, v20, v17, v34 neg_lo:[1,1,0]
	v_dot4_i32_iu8 v32, v20, v18, v32 neg_lo:[1,1,0]
	v_dot4_i32_iu8 v26, v20, v19, v26 neg_lo:[1,1,0]
	v_dot4_i32_iu8 v24, v21, v16, v24 neg_lo:[1,1,0]
	v_dot4_i32_iu8 v71, v21, v17, v71 neg_lo:[1,1,0]
	v_dot4_i32_iu8 v88, v21, v18, v88 neg_lo:[1,1,0]
	v_dot4_i32_iu8 v89, v21, v19, v89 neg_lo:[1,1,0]
	v_dot4_i32_iu8 v47, v22, v16, v47 neg_lo:[1,1,0]
	v_dot4_i32_iu8 v79, v22, v17, v79 neg_lo:[1,1,0]
	v_dot4_i32_iu8 v81, v22, v18, v81 neg_lo:[1,1,0]
	v_dot4_i32_iu8 v82, v22, v19, v82 neg_lo:[1,1,0]
	v_dot4_i32_iu8 v30, v23, v16, v30 neg_lo:[1,1,0]
	v_dot4_i32_iu8 v73, v23, v17, v73 neg_lo:[1,1,0]
	v_dot4_i32_iu8 v28, v23, v18, v28 neg_lo:[1,1,0]
	ds_load_b128 v[16:19], v41 offset:23296
	ds_load_b128 v[20:23], v40 offset:6912
	v_add_nc_u32_e32 v87, s0, v87
	s_wait_dscnt 0x2
	v_dot4_i32_iu8 v29, v8, v12, v29 neg_lo:[1,1,0]
	v_dot4_i32_iu8 v31, v8, v13, v31 neg_lo:[1,1,0]
	;; [unrolled: 1-line block ×16, first 2 shown]
	s_wait_dscnt 0x1
	v_dot4_i32_iu8 v62, v8, v16, v62 neg_lo:[1,1,0]
	v_dot4_i32_iu8 v63, v8, v17, v63 neg_lo:[1,1,0]
	;; [unrolled: 1-line block ×16, first 2 shown]
	ds_load_b128 v[8:11], v40 offset:7168
	s_wait_dscnt 0x1
	v_dot4_i32_iu8 v43, v20, v12, v43 neg_lo:[1,1,0]
	v_dot4_i32_iu8 v70, v20, v13, v70 neg_lo:[1,1,0]
	v_dot4_i32_iu8 v69, v20, v14, v69 neg_lo:[1,1,0]
	v_dot4_i32_iu8 v68, v20, v15, v68 neg_lo:[1,1,0]
	v_dot4_i32_iu8 v67, v21, v12, v67 neg_lo:[1,1,0]
	v_dot4_i32_iu8 v39, v21, v13, v39 neg_lo:[1,1,0]
	v_dot4_i32_iu8 v38, v21, v14, v38 neg_lo:[1,1,0]
	v_dot4_i32_iu8 v37, v21, v15, v37 neg_lo:[1,1,0]
	v_dot4_i32_iu8 v35, v22, v12, v35 neg_lo:[1,1,0]
	v_dot4_i32_iu8 v33, v22, v13, v33 neg_lo:[1,1,0]
	v_dot4_i32_iu8 v27, v22, v14, v27 neg_lo:[1,1,0]
	v_dot4_i32_iu8 v25, v22, v15, v25 neg_lo:[1,1,0]
	v_dot4_i32_iu8 v42, v23, v12, v42 neg_lo:[1,1,0]
	v_dot4_i32_iu8 v44, v23, v13, v44 neg_lo:[1,1,0]
	v_dot4_i32_iu8 v45, v23, v14, v45 neg_lo:[1,1,0]
	v_dot4_i32_iu8 v46, v23, v15, v46 neg_lo:[1,1,0]
	ds_load_b128 v[12:15], v41 offset:23552
	v_dot4_i32_iu8 v36, v20, v16, v36 neg_lo:[1,1,0]
	v_dot4_i32_iu8 v34, v20, v17, v34 neg_lo:[1,1,0]
	v_dot4_i32_iu8 v32, v20, v18, v32 neg_lo:[1,1,0]
	v_dot4_i32_iu8 v26, v20, v19, v26 neg_lo:[1,1,0]
	v_dot4_i32_iu8 v24, v21, v16, v24 neg_lo:[1,1,0]
	v_dot4_i32_iu8 v71, v21, v17, v71 neg_lo:[1,1,0]
	v_dot4_i32_iu8 v88, v21, v18, v88 neg_lo:[1,1,0]
	v_dot4_i32_iu8 v89, v21, v19, v89 neg_lo:[1,1,0]
	v_dot4_i32_iu8 v47, v22, v16, v47 neg_lo:[1,1,0]
	v_dot4_i32_iu8 v79, v22, v17, v79 neg_lo:[1,1,0]
	v_dot4_i32_iu8 v81, v22, v18, v81 neg_lo:[1,1,0]
	v_dot4_i32_iu8 v82, v22, v19, v82 neg_lo:[1,1,0]
	v_dot4_i32_iu8 v30, v23, v16, v30 neg_lo:[1,1,0]
	v_dot4_i32_iu8 v73, v23, v17, v73 neg_lo:[1,1,0]
	v_dot4_i32_iu8 v28, v23, v18, v28 neg_lo:[1,1,0]
	v_dot4_i32_iu8 v90, v23, v19, v90 neg_lo:[1,1,0]
	ds_load_b128 v[16:19], v41 offset:23808
	ds_load_b128 v[20:23], v40 offset:7424
	buffer_load_b32 v94, v87, s[24:27], null offen
	v_add_nc_u32_e32 v87, s1, v87
	s_wait_dscnt 0x2
	v_dot4_i32_iu8 v29, v8, v12, v29 neg_lo:[1,1,0]
	v_dot4_i32_iu8 v31, v8, v13, v31 neg_lo:[1,1,0]
	v_dot4_i32_iu8 v48, v8, v14, v48 neg_lo:[1,1,0]
	v_dot4_i32_iu8 v49, v8, v15, v49 neg_lo:[1,1,0]
	buffer_load_b32 v95, v87, s[24:27], null offen
	v_add_nc_u32_e32 v87, s0, v87
	v_dot4_i32_iu8 v50, v9, v12, v50 neg_lo:[1,1,0]
	v_dot4_i32_iu8 v51, v9, v13, v51 neg_lo:[1,1,0]
	;; [unrolled: 1-line block ×4, first 2 shown]
	buffer_load_b32 v96, v87, s[24:27], null offen
	v_add_nc_u32_e32 v87, s1, v87
	v_dot4_i32_iu8 v54, v10, v12, v54 neg_lo:[1,1,0]
	v_dot4_i32_iu8 v55, v10, v13, v55 neg_lo:[1,1,0]
	;; [unrolled: 1-line block ×8, first 2 shown]
	s_wait_dscnt 0x1
	v_dot4_i32_iu8 v62, v8, v16, v62 neg_lo:[1,1,0]
	v_dot4_i32_iu8 v63, v8, v17, v63 neg_lo:[1,1,0]
	;; [unrolled: 1-line block ×16, first 2 shown]
	ds_load_b128 v[8:11], v40 offset:7680
	s_wait_dscnt 0x1
	v_dot4_i32_iu8 v43, v20, v12, v43 neg_lo:[1,1,0]
	v_dot4_i32_iu8 v70, v20, v13, v70 neg_lo:[1,1,0]
	;; [unrolled: 1-line block ×16, first 2 shown]
	ds_load_b128 v[12:15], v41 offset:24064
	buffer_load_b32 v97, v87, s[24:27], null offen
	v_dot4_i32_iu8 v36, v20, v16, v36 neg_lo:[1,1,0]
	v_dot4_i32_iu8 v34, v20, v17, v34 neg_lo:[1,1,0]
	;; [unrolled: 1-line block ×16, first 2 shown]
	ds_load_b128 v[16:19], v41 offset:24320
	ds_load_b128 v[20:23], v40 offset:7936
	v_add_nc_u32_e32 v41, s0, v87
	s_wait_dscnt 0x2
	v_dot4_i32_iu8 v40, v8, v14, v48 neg_lo:[1,1,0]
	v_dot4_i32_iu8 v48, v8, v15, v49 neg_lo:[1,1,0]
	;; [unrolled: 1-line block ×5, first 2 shown]
	buffer_load_b32 v52, v41, s[24:27], null offen
	v_add_nc_u32_e32 v41, s1, v41
	v_dot4_i32_iu8 v29, v8, v12, v29 neg_lo:[1,1,0]
	v_dot4_i32_iu8 v31, v8, v13, v31 neg_lo:[1,1,0]
	v_cmp_gt_i32_e64 s1, s23, v0
	v_dot4_i32_iu8 v55, v10, v13, v55 neg_lo:[1,1,0]
	v_dot4_i32_iu8 v59, v11, v13, v59 neg_lo:[1,1,0]
	v_dot4_i32_iu8 v53, v9, v15, v53 neg_lo:[1,1,0]
	v_dot4_i32_iu8 v54, v10, v12, v54 neg_lo:[1,1,0]
	v_dot4_i32_iu8 v57, v10, v15, v57 neg_lo:[1,1,0]
	v_dot4_i32_iu8 v58, v11, v12, v58 neg_lo:[1,1,0]
	v_dot4_i32_iu8 v61, v11, v15, v61 neg_lo:[1,1,0]
	s_wait_dscnt 0x1
	v_dot4_i32_iu8 v62, v8, v16, v62 neg_lo:[1,1,0]
	v_dot4_i32_iu8 v63, v8, v17, v63 neg_lo:[1,1,0]
	;; [unrolled: 1-line block ×7, first 2 shown]
	buffer_load_b32 v85, v41, s[24:27], null offen
	v_add_nc_u32_e32 v41, s0, v41
	s_and_b32 s0, s1, vcc_lo
	s_wait_dscnt 0x0
	v_dot4_i32_iu8 v70, v20, v13, v70 neg_lo:[1,1,0]
	v_dot4_i32_iu8 v39, v21, v13, v39 neg_lo:[1,1,0]
	;; [unrolled: 1-line block ×3, first 2 shown]
	buffer_load_b32 v41, v41, s[24:27], null offen
	v_dot4_i32_iu8 v13, v23, v13, v44 neg_lo:[1,1,0]
	v_dot4_i32_iu8 v44, v22, v16, v47 neg_lo:[1,1,0]
	v_dot4_i32_iu8 v78, v10, v18, v78 neg_lo:[1,1,0]
	v_dot4_i32_iu8 v74, v11, v18, v74 neg_lo:[1,1,0]
	v_dot4_i32_iu8 v43, v20, v12, v43 neg_lo:[1,1,0]
	v_dot4_i32_iu8 v68, v20, v15, v68 neg_lo:[1,1,0]
	v_dot4_i32_iu8 v67, v21, v12, v67 neg_lo:[1,1,0]
	v_dot4_i32_iu8 v37, v21, v15, v37 neg_lo:[1,1,0]
	v_dot4_i32_iu8 v35, v22, v12, v35 neg_lo:[1,1,0]
	v_dot4_i32_iu8 v25, v22, v15, v25 neg_lo:[1,1,0]
	v_dot4_i32_iu8 v12, v23, v12, v42 neg_lo:[1,1,0]
	v_dot4_i32_iu8 v15, v23, v15, v46 neg_lo:[1,1,0]
	v_dot4_i32_iu8 v32, v20, v18, v32 neg_lo:[1,1,0]
	v_dot4_i32_iu8 v42, v21, v18, v88 neg_lo:[1,1,0]
	v_dot4_i32_iu8 v46, v22, v18, v81 neg_lo:[1,1,0]
	v_dot4_i32_iu8 v18, v23, v18, v28 neg_lo:[1,1,0]
	v_add_nc_u32_e32 v28, 64, v1
	v_dot4_i32_iu8 v83, v10, v16, v83 neg_lo:[1,1,0]
	v_dot4_i32_iu8 v76, v11, v16, v76 neg_lo:[1,1,0]
	;; [unrolled: 1-line block ×8, first 2 shown]
	s_wait_loadcnt 0xf
	v_cndmask_b32_e64 v2, 0, v2, s0
	v_cmp_gt_i32_e64 s0, s33, v28
	v_dot4_i32_iu8 v80, v10, v17, v80 neg_lo:[1,1,0]
	v_dot4_i32_iu8 v10, v10, v19, v77 neg_lo:[1,1,0]
	;; [unrolled: 1-line block ×3, first 2 shown]
	v_lshrrev_b32_e32 v47, 8, v2
	v_add_nc_u16 v29, v2, v29
	v_dot4_i32_iu8 v11, v11, v19, v72 neg_lo:[1,1,0]
	v_dot4_i32_iu8 v69, v20, v14, v69 neg_lo:[1,1,0]
	;; [unrolled: 1-line block ×3, first 2 shown]
	v_add_nc_u16 v30, v47, v31
	v_dot4_i32_iu8 v27, v22, v14, v27 neg_lo:[1,1,0]
	v_dot4_i32_iu8 v14, v23, v14, v45 neg_lo:[1,1,0]
	v_dot4_i32_iu8 v34, v20, v17, v34 neg_lo:[1,1,0]
	v_dot4_i32_iu8 v20, v20, v19, v26 neg_lo:[1,1,0]
	v_dot4_i32_iu8 v26, v21, v17, v71 neg_lo:[1,1,0]
	v_dot4_i32_iu8 v21, v21, v19, v89 neg_lo:[1,1,0]
	v_dot4_i32_iu8 v45, v22, v17, v79 neg_lo:[1,1,0]
	v_dot4_i32_iu8 v22, v22, v19, v82 neg_lo:[1,1,0]
	v_dot4_i32_iu8 v17, v23, v17, v73 neg_lo:[1,1,0]
	v_dot4_i32_iu8 v19, v23, v19, v90 neg_lo:[1,1,0]
	v_bfe_i32 v23, v29, 0, 8
	v_bfe_i32 v29, v30, 0, 8
	v_lshrrev_b32_e32 v30, 16, v2
	v_lshrrev_b32_e32 v2, 24, v2
	s_and_b32 s1, s1, s0
	v_max_i16 v23, v23, 0
	s_wait_loadcnt 0xe
	s_wait_alu 0xfffe
	v_cndmask_b32_e64 v3, 0, v3, s1
	v_add_nc_u16 v30, v30, v40
	v_add_nc_u16 v2, v2, v48
	v_or_b32_e32 v40, 1, v0
	v_max_i16 v29, v29, 0
	v_lshrrev_b32_e32 v47, 8, v3
	v_add_nc_u16 v31, v3, v62
	v_bfe_i32 v2, v2, 0, 8
	v_cmp_gt_i32_e64 s1, s23, v40
	v_bfe_i32 v30, v30, 0, 8
	v_and_b32_e32 v23, 0xffff, v23
	v_bfe_i32 v31, v31, 0, 8
	v_max_i16 v48, v2, 0
	v_add_nc_u16 v2, v47, v63
	s_and_b32 s2, s1, vcc_lo
	v_lshrrev_b32_e32 v47, 16, v3
	s_wait_loadcnt 0xd
	s_wait_alu 0xfffe
	v_cndmask_b32_e64 v4, 0, v4, s2
	v_lshrrev_b32_e32 v3, 24, v3
	v_bfe_i32 v2, v2, 0, 8
	s_and_b32 s1, s1, s0
	v_add_nc_u16 v47, v47, v64
	v_lshrrev_b32_e32 v62, 8, v4
	v_add_nc_u16 v3, v3, v8
	v_max_i16 v2, v2, 0
	s_wait_loadcnt 0xc
	s_wait_alu 0xfffe
	v_cndmask_b32_e64 v5, 0, v5, s1
	v_bfe_i32 v8, v47, 0, 8
	v_add_nc_u16 v47, v4, v49
	v_add_nc_u16 v49, v62, v50
	v_and_b32_e32 v50, 0xffff, v2
	v_bfe_i32 v2, v3, 0, 8
	v_max_i16 v3, v8, 0
	v_bfe_i32 v8, v47, 0, 8
	v_bfe_i32 v47, v49, 0, 8
	v_lshrrev_b32_e32 v49, 16, v4
	v_max_i16 v62, v2, 0
	v_lshrrev_b32_e32 v2, 24, v4
	v_max_i16 v4, v8, 0
	v_max_i16 v8, v47, 0
	v_add_nc_u16 v47, v49, v51
	v_or_b32_e32 v51, 2, v0
	v_add_nc_u16 v2, v2, v53
	v_lshrrev_b32_e32 v53, 8, v5
	v_add_nc_u16 v49, v5, v65
	v_and_b32_e32 v29, 0xffff, v29
	v_cmp_gt_i32_e64 s1, s23, v51
	v_bfe_i32 v2, v2, 0, 8
	v_max_i16 v30, v30, 0
	v_max_i16 v31, v31, 0
	v_bfe_i32 v49, v49, 0, 8
	s_and_b32 s2, s1, vcc_lo
	v_max_i16 v63, v2, 0
	v_add_nc_u16 v2, v53, v66
	v_lshrrev_b32_e32 v53, 16, v5
	s_wait_loadcnt 0xb
	s_wait_alu 0xfffe
	v_cndmask_b32_e64 v6, 0, v6, s2
	v_lshrrev_b32_e32 v5, 24, v5
	s_and_b32 s1, s1, s0
	v_bfe_i32 v2, v2, 0, 8
	v_add_nc_u16 v53, v53, v84
	v_lshrrev_b32_e32 v64, 8, v6
	v_add_nc_u16 v5, v5, v9
	s_wait_loadcnt 0xa
	s_wait_alu 0xfffe
	v_cndmask_b32_e64 v7, 0, v7, s1
	v_max_i16 v2, v2, 0
	v_bfe_i32 v9, v53, 0, 8
	v_add_nc_u16 v53, v6, v54
	v_add_nc_u16 v54, v64, v55
	v_and_b32_e32 v31, 0xffff, v31
	v_and_b32_e32 v55, 0xffff, v2
	v_bfe_i32 v2, v5, 0, 8
	v_max_i16 v5, v9, 0
	v_bfe_i32 v9, v53, 0, 8
	v_bfe_i32 v53, v54, 0, 8
	v_lshrrev_b32_e32 v54, 16, v6
	v_max_i16 v64, v2, 0
	v_lshrrev_b32_e32 v2, 24, v6
	v_max_i16 v6, v9, 0
	v_max_i16 v9, v53, 0
	v_add_nc_u16 v53, v54, v56
	v_or_b32_e32 v56, 3, v0
	v_add_nc_u16 v2, v2, v57
	v_lshrrev_b32_e32 v57, 8, v7
	v_add_nc_u16 v54, v7, v83
	v_max_i16 v49, v49, 0
	v_cmp_gt_i32_e64 s1, s23, v56
	v_bfe_i32 v2, v2, 0, 8
	v_bfe_i32 v47, v47, 0, 8
	;; [unrolled: 1-line block ×3, first 2 shown]
	v_and_b32_e32 v49, 0xffff, v49
	s_and_b32 s2, s1, vcc_lo
	v_max_i16 v65, v2, 0
	v_add_nc_u16 v2, v57, v80
	v_lshrrev_b32_e32 v57, 16, v7
	s_wait_loadcnt 0x9
	s_wait_alu 0xfffe
	v_cndmask_b32_e64 v66, 0, v91, s2
	v_lshrrev_b32_e32 v7, 24, v7
	s_and_b32 s1, s1, s0
	v_bfe_i32 v2, v2, 0, 8
	v_add_nc_u16 v57, v57, v78
	v_lshrrev_b32_e32 v71, 8, v66
	v_add_nc_u16 v7, v7, v10
	v_bfe_i32 v54, v54, 0, 8
	v_max_i16 v2, v2, 0
	v_bfe_i32 v10, v57, 0, 8
	v_add_nc_u16 v57, v66, v58
	v_add_nc_u16 v58, v71, v59
	v_and_b32_e32 v4, 0xffff, v4
	v_and_b32_e32 v59, 0xffff, v2
	v_bfe_i32 v2, v7, 0, 8
	v_max_i16 v7, v10, 0
	v_bfe_i32 v10, v57, 0, 8
	v_bfe_i32 v57, v58, 0, 8
	v_lshrrev_b32_e32 v58, 16, v66
	v_max_i16 v71, v2, 0
	v_lshrrev_b32_e32 v2, 24, v66
	v_or_b32_e32 v66, 64, v0
	v_and_b32_e32 v8, 0xffff, v8
	v_add_nc_u16 v58, v58, v60
	s_wait_loadcnt 0x8
	s_wait_alu 0xfffe
	v_cndmask_b32_e64 v60, 0, v92, s1
	v_add_nc_u16 v2, v2, v61
	v_cmp_gt_i32_e64 s1, s23, v66
	v_max_i16 v47, v47, 0
	v_and_b32_e32 v6, 0xffff, v6
	v_lshrrev_b32_e32 v72, 8, v60
	v_bfe_i32 v2, v2, 0, 8
	s_and_b32 s2, s1, vcc_lo
	v_add_nc_u16 v61, v60, v76
	s_and_b32 s1, s1, s0
	v_and_b32_e32 v9, 0xffff, v9
	v_max_i16 v73, v2, 0
	v_add_nc_u16 v2, v72, v75
	v_lshrrev_b32_e32 v72, 16, v60
	s_wait_loadcnt 0x7
	s_wait_alu 0xfffe
	v_cndmask_b32_e64 v75, 0, v93, s2
	v_lshrrev_b32_e32 v60, 24, v60
	v_max_i16 v53, v53, 0
	v_bfe_i32 v2, v2, 0, 8
	v_add_nc_u16 v72, v72, v74
	v_lshrrev_b32_e32 v74, 8, v75
	v_add_nc_u16 v11, v60, v11
	v_add_nc_u16 v43, v75, v43
	v_max_i16 v2, v2, 0
	v_bfe_i32 v60, v72, 0, 8
	v_add_nc_u16 v70, v74, v70
	v_lshlrev_b32_e32 v5, 16, v5
	v_max_i16 v54, v54, 0
	v_and_b32_e32 v72, 0xffff, v2
	v_bfe_i32 v2, v11, 0, 8
	v_max_i16 v11, v60, 0
	v_bfe_i32 v60, v70, 0, 8
	v_lshrrev_b32_e32 v70, 16, v75
	v_bfe_i32 v61, v61, 0, 8
	v_max_i16 v74, v2, 0
	v_lshrrev_b32_e32 v2, 24, v75
	v_lshl_or_b32 v4, v8, 8, v4
	v_add_nc_u16 v69, v70, v69
	v_lshlrev_b32_e32 v8, 16, v47
	v_lshl_or_b32 v6, v9, 8, v6
	v_add_nc_u16 v2, v2, v68
	v_lshlrev_b32_e32 v9, 16, v53
	v_bfe_i32 v68, v69, 0, 8
	v_add_nc_u32_e32 v69, 0x41, v0
	v_and_b32_e32 v54, 0xffff, v54
	v_bfe_i32 v2, v2, 0, 8
	v_max_i16 v61, v61, 0
	v_max_i16 v10, v10, 0
	s_wait_loadcnt 0x6
	v_cndmask_b32_e64 v70, 0, v94, s1
	v_cmp_gt_i32_e64 s1, s23, v69
	v_max_i16 v76, v2, 0
	v_max_i16 v57, v57, 0
	v_bfe_i32 v58, v58, 0, 8
	v_add_nc_u16 v36, v70, v36
	v_lshrrev_b32_e32 v75, 8, v70
	s_and_b32 s2, s1, vcc_lo
	s_and_b32 s1, s1, s0
	v_and_b32_e32 v61, 0xffff, v61
	v_bfe_i32 v36, v36, 0, 8
	v_add_nc_u16 v2, v75, v34
	v_lshrrev_b32_e32 v34, 16, v70
	s_wait_loadcnt 0x5
	s_wait_alu 0xfffe
	v_cndmask_b32_e64 v75, 0, v95, s2
	v_lshrrev_b32_e32 v70, 24, v70
	v_max_i16 v36, v36, 0
	v_bfe_i32 v2, v2, 0, 8
	v_add_nc_u16 v32, v34, v32
	v_add_nc_u16 v67, v75, v67
	;; [unrolled: 1-line block ×3, first 2 shown]
	v_and_b32_e32 v34, 0xffff, v36
	v_lshrrev_b32_e32 v36, 8, v75
	v_max_i16 v2, v2, 0
	v_bfe_i32 v32, v32, 0, 8
	v_lshlrev_b32_e32 v7, 16, v7
	v_and_b32_e32 v10, 0xffff, v10
	v_add_nc_u16 v36, v36, v39
	v_and_b32_e32 v39, 0xffff, v2
	v_bfe_i32 v2, v20, 0, 8
	v_max_i16 v20, v32, 0
	v_bfe_i32 v32, v67, 0, 8
	v_lshrrev_b32_e32 v67, 16, v75
	v_and_b32_e32 v57, 0xffff, v57
	v_max_i16 v70, v2, 0
	v_lshrrev_b32_e32 v2, 24, v75
	v_max_i16 v58, v58, 0
	v_add_nc_u16 v38, v67, v38
	s_wait_loadcnt 0x4
	v_cndmask_b32_e64 v67, 0, v96, s1
	v_lshl_or_b32 v10, v57, 8, v10
	v_add_nc_u16 v2, v2, v37
	v_bfe_i32 v36, v36, 0, 8
	v_bfe_i32 v37, v38, 0, 8
	v_add_nc_u32_e32 v38, 0x42, v0
	v_lshrrev_b32_e32 v75, 8, v67
	v_bfe_i32 v2, v2, 0, 8
	v_add_nc_u16 v24, v67, v24
	v_max_i16 v32, v32, 0
	v_cmp_gt_i32_e64 s1, s23, v38
	v_max_i16 v36, v36, 0
	v_max_i16 v77, v2, 0
	v_add_nc_u16 v2, v75, v26
	v_lshrrev_b32_e32 v26, 16, v67
	s_and_b32 s2, s1, vcc_lo
	s_and_b32 s1, s1, s0
	v_and_b32_e32 v32, 0xffff, v32
	v_bfe_i32 v2, v2, 0, 8
	s_wait_loadcnt 0x3
	s_wait_alu 0xfffe
	v_cndmask_b32_e64 v75, 0, v97, s2
	v_add_nc_u16 v26, v26, v42
	v_lshrrev_b32_e32 v42, 24, v67
	v_and_b32_e32 v36, 0xffff, v36
	v_max_i16 v2, v2, 0
	v_lshrrev_b32_e32 v67, 8, v75
	v_add_nc_u16 v35, v75, v35
	v_add_nc_u16 v21, v42, v21
	v_max_i16 v37, v37, 0
	v_and_b32_e32 v42, 0xffff, v2
	v_add_nc_u16 v33, v67, v33
	v_lshrrev_b32_e32 v67, 24, v75
	v_bfe_i32 v2, v21, 0, 8
	v_bfe_i32 v21, v35, 0, 8
	v_lshrrev_b32_e32 v35, 16, v75
	v_bfe_i32 v33, v33, 0, 8
	v_add_nc_u16 v25, v67, v25
	v_max_i16 v75, v2, 0
	v_max_i16 v2, v21, 0
	v_add_nc_u16 v27, v35, v27
	v_max_i16 v21, v33, 0
	v_add_nc_u32_e32 v67, 0x43, v0
	v_bfe_i32 v24, v24, 0, 8
	v_and_b32_e32 v35, 0xffff, v2
	s_wait_loadcnt 0x2
	v_cndmask_b32_e64 v33, 0, v52, s1
	v_bfe_i32 v2, v27, 0, 8
	v_cmp_gt_i32_e64 s1, s23, v67
	s_mov_b32 s23, s27
	v_bfe_i32 v25, v25, 0, 8
	v_add_nc_u16 v27, v33, v44
	v_lshrrev_b32_e32 v44, 8, v33
	v_max_i16 v52, v2, 0
	s_and_b32 vcc_lo, s1, vcc_lo
	v_max_i16 v24, v24, 0
	v_bfe_i32 v2, v27, 0, 8
	v_add_nc_u16 v27, v44, v45
	v_lshrrev_b32_e32 v44, 16, v33
	v_lshrrev_b32_e32 v33, 24, v33
	v_bfe_i32 v26, v26, 0, 8
	v_max_i16 v2, v2, 0
	v_bfe_i32 v27, v27, 0, 8
	v_add_nc_u16 v44, v44, v46
	v_add_nc_u16 v22, v33, v22
	s_wait_loadcnt 0x1
	v_cndmask_b32_e32 v33, 0, v85, vcc_lo
	v_and_b32_e32 v45, 0xffff, v2
	v_max_i16 v2, v27, 0
	v_bfe_i32 v27, v44, 0, 8
	s_and_b32 vcc_lo, s1, s0
	v_lshrrev_b32_e32 v44, 8, v33
	s_wait_loadcnt 0x0
	s_wait_alu 0xfffe
	v_dual_cndmask_b32 v41, 0, v41 :: v_dual_and_b32 v46, 0xffff, v2
	v_add_nc_u16 v12, v33, v12
	v_cmp_gt_i32_e32 vcc_lo, s28, v1
	v_add_nc_u16 v2, v44, v13
	v_lshrrev_b32_e32 v13, 16, v33
	v_add_nc_u16 v16, v41, v16
	v_cmp_gt_i32_e64 s0, s15, v0
	v_bfe_i32 v12, v12, 0, 8
	v_bfe_i32 v2, v2, 0, 8
	v_add_nc_u16 v13, v13, v14
	v_lshrrev_b32_e32 v14, 24, v33
	v_lshrrev_b32_e32 v33, 8, v41
	s_and_b32 s1, s0, vcc_lo
	v_max_i16 v2, v2, 0
	v_max_i16 v12, v12, 0
	v_bfe_i32 v13, v13, 0, 8
	v_add_nc_u16 v17, v33, v17
	v_bfe_i32 v22, v22, 0, 8
	v_and_b32_e32 v33, 0xffff, v2
	v_add_nc_u16 v2, v14, v15
	v_bfe_i32 v14, v16, 0, 8
	v_bfe_i32 v15, v17, 0, 8
	v_lshrrev_b32_e32 v17, 24, v41
	v_lshrrev_b32_e32 v16, 16, v41
	v_bfe_i32 v2, v2, 0, 8
	v_and_b32_e32 v12, 0xffff, v12
	v_max_i16 v13, v13, 0
	v_add_nc_u16 v17, v17, v19
	v_add_nc_u16 v16, v16, v18
	v_max_i16 v18, v2, 0
	v_mul_lo_u32 v2, v0, s34
	v_lshl_or_b32 v19, v29, 8, v23
	v_bfe_i32 v17, v17, 0, 8
	v_bfe_i32 v16, v16, 0, 8
	v_lshlrev_b32_e32 v23, 16, v30
	v_lshlrev_b32_e32 v29, 24, v48
	v_max_i16 v14, v14, 0
	v_max_i16 v15, v15, 0
	v_mad_co_u64_u32 v[0:1], null, v1, s35, v[2:3]
	v_max_i16 v2, v17, 0
	s_wait_alu 0xfffe
	v_cndmask_b32_e64 v17, 0x80000000, 0, s1
	v_cmp_gt_i32_e64 s1, s28, v28
	v_max_i16 v1, v16, 0
	v_or3_b32 v16, v19, v23, v29
	v_lshl_or_b32 v23, v50, 8, v31
	v_add_nc_u32_e32 v19, s3, v0
	s_and_b32 s0, s0, s1
	v_lshlrev_b32_e32 v3, 16, v3
	v_lshlrev_b32_e32 v28, 24, v62
	s_wait_alu 0xfffe
	v_cndmask_b32_e64 v29, 0x80000000, 0, s0
	v_cmp_gt_i32_e64 s0, s15, v40
	v_add_nc_u32_e32 v17, v17, v0
	v_add_nc_u32_e32 v0, s34, v0
	v_or3_b32 v3, v23, v3, v28
	v_add_nc_u32_e32 v23, v29, v19
	s_and_b32 s2, s0, s1
	s_clause 0x1
	buffer_store_b32 v16, v17, s[20:23], null offen
	buffer_store_b32 v3, v23, s[20:23], null offen
	v_cndmask_b32_e64 v16, 0x80000000, 0, s2
	v_cmp_gt_i32_e64 s2, s15, v51
	v_lshl_or_b32 v28, v55, 8, v49
	v_lshlrev_b32_e32 v29, 24, v64
	s_and_b32 s0, s0, vcc_lo
	v_add_nc_u32_e32 v3, s34, v19
	s_wait_alu 0xfffe
	v_cndmask_b32_e64 v19, 0x80000000, 0, s0
	s_and_b32 s0, s2, vcc_lo
	v_lshlrev_b32_e32 v17, 24, v63
	v_or3_b32 v5, v28, v5, v29
	v_lshlrev_b32_e32 v23, 24, v65
	s_wait_alu 0xfffe
	v_cndmask_b32_e64 v28, 0x80000000, 0, s0
	v_add_nc_u32_e32 v16, v16, v3
	v_add_nc_u32_e32 v3, s34, v3
	s_and_b32 s0, s2, s1
	v_or3_b32 v4, v4, v8, v17
	v_add_nc_u32_e32 v8, v0, v19
	v_or3_b32 v6, v6, v9, v23
	v_add3_u32 v0, v28, s34, v0
	s_wait_alu 0xfffe
	v_cndmask_b32_e64 v19, 0x80000000, 0, s0
	v_cmp_gt_i32_e64 s0, s15, v56
	v_lshl_or_b32 v9, v59, 8, v54
	v_lshlrev_b32_e32 v17, 24, v71
	s_clause 0x2
	buffer_store_b32 v5, v16, s[20:23], null offen
	buffer_store_b32 v4, v8, s[20:23], null offen
	;; [unrolled: 1-line block ×3, first 2 shown]
	v_add_nc_u32_e32 v5, s34, v3
	s_and_b32 s2, s0, s1
	s_and_b32 s0, s0, vcc_lo
	v_or3_b32 v0, v9, v7, v17
	v_add_nc_u32_e32 v4, v3, v19
	v_lshl_or_b32 v6, v72, 8, v61
	v_lshlrev_b32_e32 v7, 16, v11
	v_lshlrev_b32_e32 v8, 24, v74
	s_wait_alu 0xfffe
	v_cndmask_b32_e64 v9, 0x80000000, 0, s2
	v_subrev_nc_u32_e32 v11, s3, v5
	v_lshlrev_b32_e32 v16, 16, v58
	v_lshlrev_b32_e32 v17, 24, v73
	v_cndmask_b32_e64 v19, 0x80000000, 0, s0
	v_cmp_gt_i32_e64 s0, s15, v67
	buffer_store_b32 v0, v4, s[20:23], null offen
	v_or3_b32 v0, v6, v7, v8
	v_add_nc_u32_e32 v4, v5, v9
	v_or3_b32 v6, v10, v16, v17
	v_add_nc_u32_e32 v7, v11, v19
	s_and_b32 s4, s0, vcc_lo
	s_and_b32 s0, s0, s1
	s_clause 0x1
	buffer_store_b32 v0, v4, s[20:23], null offen
	buffer_store_b32 v6, v7, s[20:23], null offen
	v_cndmask_b32_e64 v7, 0x80000000, 0, s0
	v_cmp_ge_i32_e64 s0, s15, v67
	v_max_i16 v27, v27, 0
	v_max_i16 v22, v22, 0
	v_and_b32_e32 v14, 0xffff, v14
	v_and_b32_e32 v15, 0xffff, v15
	v_lshl_or_b32 v8, v33, 8, v12
	v_lshlrev_b32_e32 v9, 16, v13
	v_lshlrev_b32_e32 v10, 24, v18
	s_and_b32 s0, s0, s1
	v_lshl_or_b32 v6, v15, 8, v14
	s_wait_alu 0xfffe
	v_cndmask_b32_e64 v12, 0x80000000, 0, s0
	v_cmp_gt_i32_e64 s0, s15, v38
	v_or3_b32 v0, v8, v9, v10
	v_lshlrev_b32_e32 v1, 16, v1
	v_lshlrev_b32_e32 v2, 24, v2
	v_lshl_or_b32 v8, v46, 8, v45
	v_lshlrev_b32_e32 v9, 16, v27
	v_lshlrev_b32_e32 v10, 24, v22
	s_lshl_b32 s2, s34, 6
	v_cndmask_b32_e64 v4, 0x80000000, 0, s4
	s_and_b32 s0, s0, vcc_lo
	s_wait_alu 0xfffe
	v_add_nc_u32_e32 v3, s2, v3
	v_or3_b32 v1, v6, v1, v2
	v_add3_u32 v2, v5, s2, v7
	v_or3_b32 v5, v8, v9, v10
	v_cndmask_b32_e64 v10, 0x80000000, 0, s0
	v_cmp_ge_i32_e64 s0, s15, v38
	v_add3_u32 v4, v4, s2, v11
	v_add_nc_u32_e32 v6, v3, v12
	v_subrev_nc_u32_e32 v3, s3, v3
	s_clause 0x2
	buffer_store_b32 v0, v4, s[20:23], null offen
	buffer_store_b32 v1, v2, s[20:23], null offen
	;; [unrolled: 1-line block ×3, first 2 shown]
	s_and_b32 s0, s0, vcc_lo
	v_add_nc_u32_e32 v1, v3, v10
	s_wait_alu 0xfffe
	v_cndmask_b32_e64 v6, 0x80000000, 0, s0
	v_cmp_gt_i32_e64 s0, s15, v69
	v_subrev_nc_u32_e32 v2, s34, v3
	v_lshl_or_b32 v3, v36, 8, v32
	v_lshlrev_b32_e32 v4, 16, v37
	v_lshlrev_b32_e32 v5, 24, v77
	v_and_b32_e32 v21, 0xffff, v21
	v_max_i16 v25, v25, 0
	v_bfe_i32 v43, v43, 0, 8
	s_and_b32 s0, s0, s1
	v_or3_b32 v3, v3, v4, v5
	v_add_nc_u32_e32 v4, s3, v2
	v_add_nc_u32_e32 v2, v2, v6
	s_wait_alu 0xfffe
	v_cndmask_b32_e64 v6, 0x80000000, 0, s0
	v_cmp_gt_i32_e64 s0, s15, v66
	v_and_b32_e32 v24, 0xffff, v24
	v_max_i16 v26, v26, 0
	v_lshl_or_b32 v7, v21, 8, v35
	v_lshlrev_b32_e32 v8, 16, v52
	v_lshlrev_b32_e32 v9, 24, v25
	v_max_i16 v43, v43, 0
	v_max_i16 v60, v60, 0
	v_cmp_ge_i32_e64 s2, s15, v69
	s_and_b32 s0, s0, vcc_lo
	v_or3_b32 v0, v7, v8, v9
	v_lshl_or_b32 v7, v42, 8, v24
	v_lshlrev_b32_e32 v8, 16, v26
	v_lshlrev_b32_e32 v9, 24, v75
	v_and_b32_e32 v43, 0xffff, v43
	v_and_b32_e32 v60, 0xffff, v60
	v_max_i16 v68, v68, 0
	s_wait_alu 0xfffe
	v_cndmask_b32_e64 v11, 0x80000000, 0, s0
	s_and_b32 s0, s2, s1
	v_or3_b32 v5, v7, v8, v9
	v_subrev_nc_u32_e32 v7, s34, v4
	v_lshl_or_b32 v8, v39, 8, v34
	v_lshlrev_b32_e32 v9, 16, v20
	v_lshlrev_b32_e32 v10, 24, v70
	s_wait_alu 0xfffe
	v_cndmask_b32_e64 v12, 0x80000000, 0, s0
	v_lshl_or_b32 v13, v60, 8, v43
	v_lshlrev_b32_e32 v14, 16, v68
	v_lshlrev_b32_e32 v15, 24, v76
	v_subrev_nc_u32_e32 v11, s3, v11
	v_add_nc_u32_e32 v4, v4, v6
	v_or3_b32 v6, v8, v9, v10
	v_add_nc_u32_e32 v8, v7, v12
	v_or3_b32 v9, v13, v14, v15
	v_add_nc_u32_e32 v7, v11, v7
	s_clause 0x4
	buffer_store_b32 v0, v1, s[20:23], null offen
	buffer_store_b32 v3, v2, s[20:23], null offen
	;; [unrolled: 1-line block ×5, first 2 shown]
	s_nop 0
	s_sendmsg sendmsg(MSG_DEALLOC_VGPRS)
	s_endpgm
	.section	.rodata,"a",@progbits
	.p2align	6, 0x0
	.amdhsa_kernel _ZN2ck16tensor_operation6device12_GLOBAL__N_137kernel_grouped_conv_fwd_dl_multiple_dINS_32GridwiseGemmDlMultipleD_km_kn_mnILi256EaiNS_5TupleIJaEEEaNS0_12element_wise11PassThroughES8_NS7_7AddReluELNS_25InMemoryDataOperationEnumE0ENS_16TensorDescriptorINS5_IJNS_5EmbedINS5_IJiiiiiEEESD_Lb0EEENS_11PassThroughIiEENS_3PadIiiiLb0EEESI_SI_SG_SG_NSC_INS5_IJiiEEESJ_Lb0EEESK_SK_SG_NS_23Merge_v2_magic_divisionINS5_IJiiiiEEEEESN_NS_8RightPadIiiLb0EEESP_NS_7UnMergeISJ_Lb0EEESG_EEENS5_IJNS_8SequenceIJLi0EEEENST_IJLi1EEEENST_IJLi2EEEENST_IJLi3EEEENST_IJLi4EEEENST_IJLi5EEEENST_IJLi6EEEENST_IJLi7EEEENST_IJLi8EEEENST_IJLi9EEEENST_IJLi10EEEENST_IJLi11ELi13ELi15ELi17EEEENST_IJLi12ELi14ELi16ELi18EEEENST_IJLi19EEEENST_IJLi20EEEENST_IJLi22EEEENST_IJLi21EEEEEEENS5_IJNST_IJLi1ELi2ELi3ELi4ELi5EEEES10_S11_S12_S13_S14_NST_IJLi11EEEENST_IJLi12ELi13EEEENST_IJLi14ELi15EEEENST_IJLi16ELi17EEEENST_IJLi18EEEES17_S18_S1A_S19_NST_IJLi23ELi24EEEENST_IJLi25EEEEEEENST_IJLi23ELi25ELi24EEEElEENSB_INS5_IJSR_SP_SP_SR_SG_EEENS5_IJSU_SV_SW_SY_SX_EEENS5_IJNST_IJLi1ELi2EEEESX_SY_NST_IJLi5ELi6EEEES11_EEENST_IJLi5ELi7ELi6EEEElEENSB_INS5_IJSK_SP_SP_EEENS5_IJSU_SV_SW_EEENS5_IJS1P_SX_SY_EEENST_IJLi3ELi4EEEElEELi128ELi128ELi16ELi4ELi4ELi4ELi1ENST_IJLi8ELi2EEEES1Z_NST_IJLi8ELi1ELi1ELi4EEEENST_IJLi2ELi1ELi128ELi1EEEENST_IJLi1ELi2ELi0ELi3EEEES22_NST_IJLi4ELi1ELi1ELi4EEEES22_NST_IJLi1ELi1ELi1ELi4EEEES20_S21_S22_S22_S23_S22_S24_NST_IJLi0ELi1ELi2ELi3ELi4ELi5EEEELi5ELi4EEEaNS5_IJPKaEEEaS8_S8_S9_NSB_INS5_IJSE_SG_SI_SI_SI_SG_SG_SK_SK_SK_SG_SN_SN_SP_SP_SR_SG_SG_NSQ_INS5_IJiNS_17integral_constantIiLi128EEEEEELb0EEENSF_INS2A_IiLi4EEEEEEEENS5_IJSU_SV_SW_SX_SY_SZ_S10_S11_S12_S13_S14_S15_S16_S17_S18_S19_S1A_NST_IJLi23EEEES1J_NST_IJLi24EEEEEEENS5_IJS1C_S10_S11_S12_S13_S14_S1D_S1E_S1F_S1G_S1H_S17_S18_S1A_S19_S1I_S1J_NST_IJLi26EEEENST_IJLi27ELi28EEEENST_IJLi29EEEEEEENST_IJLi26ELi27ELi28ELi29EEEElEENSB_INS5_IJSR_SP_SP_SR_SG_SG_S2D_S2F_EEENS5_IJSU_SV_SW_SY_SX_SZ_S11_S10_EEENS5_IJS1P_SX_SY_S1Q_S11_S12_NST_IJLi9ELi10EEEES1D_EEENST_IJLi8ELi9ELi10ELi11EEEElEENS5_IJNSB_INS5_IJSK_SP_SP_NSQ_INS5_IJiNS2A_IiLi2EEENS2A_IiLi64EEEEEELb0EEES2Z_EEENS5_IJSU_SV_SW_SX_SY_EEENS5_IJS1P_SX_SY_NST_IJLi5ELi6ELi7EEEENST_IJLi8ELi9ELi10EEEEEEENST_IJLi5ELi6ELi7ELi8ELi9ELi10EEEElEEEEES36_NS_31BlockToCTileMap_M00_N00_M01_N01ILi128ELi128ES1Y_Lb0EEENS1_30ComputePtrOffsetOfStridedBatchILi1ELi1ELi1EvEELb1ELb0EEEvPKT0_S3E_T1_PT2_T3_T4_T5_iT6_T7_T8_T9_T10_T11_
		.amdhsa_group_segment_fixed_size 32768
		.amdhsa_private_segment_fixed_size 0
		.amdhsa_kernarg_size 1024
		.amdhsa_user_sgpr_count 2
		.amdhsa_user_sgpr_dispatch_ptr 0
		.amdhsa_user_sgpr_queue_ptr 0
		.amdhsa_user_sgpr_kernarg_segment_ptr 1
		.amdhsa_user_sgpr_dispatch_id 0
		.amdhsa_user_sgpr_private_segment_size 0
		.amdhsa_wavefront_size32 1
		.amdhsa_uses_dynamic_stack 0
		.amdhsa_enable_private_segment 0
		.amdhsa_system_sgpr_workgroup_id_x 1
		.amdhsa_system_sgpr_workgroup_id_y 0
		.amdhsa_system_sgpr_workgroup_id_z 0
		.amdhsa_system_sgpr_workgroup_info 0
		.amdhsa_system_vgpr_workitem_id 0
		.amdhsa_next_free_vgpr 203
		.amdhsa_next_free_sgpr 82
		.amdhsa_reserve_vcc 1
		.amdhsa_float_round_mode_32 0
		.amdhsa_float_round_mode_16_64 0
		.amdhsa_float_denorm_mode_32 3
		.amdhsa_float_denorm_mode_16_64 3
		.amdhsa_fp16_overflow 0
		.amdhsa_workgroup_processor_mode 1
		.amdhsa_memory_ordered 1
		.amdhsa_forward_progress 1
		.amdhsa_inst_pref_size 255
		.amdhsa_round_robin_scheduling 0
		.amdhsa_exception_fp_ieee_invalid_op 0
		.amdhsa_exception_fp_denorm_src 0
		.amdhsa_exception_fp_ieee_div_zero 0
		.amdhsa_exception_fp_ieee_overflow 0
		.amdhsa_exception_fp_ieee_underflow 0
		.amdhsa_exception_fp_ieee_inexact 0
		.amdhsa_exception_int_div_zero 0
	.end_amdhsa_kernel
	.section	.text._ZN2ck16tensor_operation6device12_GLOBAL__N_137kernel_grouped_conv_fwd_dl_multiple_dINS_32GridwiseGemmDlMultipleD_km_kn_mnILi256EaiNS_5TupleIJaEEEaNS0_12element_wise11PassThroughES8_NS7_7AddReluELNS_25InMemoryDataOperationEnumE0ENS_16TensorDescriptorINS5_IJNS_5EmbedINS5_IJiiiiiEEESD_Lb0EEENS_11PassThroughIiEENS_3PadIiiiLb0EEESI_SI_SG_SG_NSC_INS5_IJiiEEESJ_Lb0EEESK_SK_SG_NS_23Merge_v2_magic_divisionINS5_IJiiiiEEEEESN_NS_8RightPadIiiLb0EEESP_NS_7UnMergeISJ_Lb0EEESG_EEENS5_IJNS_8SequenceIJLi0EEEENST_IJLi1EEEENST_IJLi2EEEENST_IJLi3EEEENST_IJLi4EEEENST_IJLi5EEEENST_IJLi6EEEENST_IJLi7EEEENST_IJLi8EEEENST_IJLi9EEEENST_IJLi10EEEENST_IJLi11ELi13ELi15ELi17EEEENST_IJLi12ELi14ELi16ELi18EEEENST_IJLi19EEEENST_IJLi20EEEENST_IJLi22EEEENST_IJLi21EEEEEEENS5_IJNST_IJLi1ELi2ELi3ELi4ELi5EEEES10_S11_S12_S13_S14_NST_IJLi11EEEENST_IJLi12ELi13EEEENST_IJLi14ELi15EEEENST_IJLi16ELi17EEEENST_IJLi18EEEES17_S18_S1A_S19_NST_IJLi23ELi24EEEENST_IJLi25EEEEEEENST_IJLi23ELi25ELi24EEEElEENSB_INS5_IJSR_SP_SP_SR_SG_EEENS5_IJSU_SV_SW_SY_SX_EEENS5_IJNST_IJLi1ELi2EEEESX_SY_NST_IJLi5ELi6EEEES11_EEENST_IJLi5ELi7ELi6EEEElEENSB_INS5_IJSK_SP_SP_EEENS5_IJSU_SV_SW_EEENS5_IJS1P_SX_SY_EEENST_IJLi3ELi4EEEElEELi128ELi128ELi16ELi4ELi4ELi4ELi1ENST_IJLi8ELi2EEEES1Z_NST_IJLi8ELi1ELi1ELi4EEEENST_IJLi2ELi1ELi128ELi1EEEENST_IJLi1ELi2ELi0ELi3EEEES22_NST_IJLi4ELi1ELi1ELi4EEEES22_NST_IJLi1ELi1ELi1ELi4EEEES20_S21_S22_S22_S23_S22_S24_NST_IJLi0ELi1ELi2ELi3ELi4ELi5EEEELi5ELi4EEEaNS5_IJPKaEEEaS8_S8_S9_NSB_INS5_IJSE_SG_SI_SI_SI_SG_SG_SK_SK_SK_SG_SN_SN_SP_SP_SR_SG_SG_NSQ_INS5_IJiNS_17integral_constantIiLi128EEEEEELb0EEENSF_INS2A_IiLi4EEEEEEEENS5_IJSU_SV_SW_SX_SY_SZ_S10_S11_S12_S13_S14_S15_S16_S17_S18_S19_S1A_NST_IJLi23EEEES1J_NST_IJLi24EEEEEEENS5_IJS1C_S10_S11_S12_S13_S14_S1D_S1E_S1F_S1G_S1H_S17_S18_S1A_S19_S1I_S1J_NST_IJLi26EEEENST_IJLi27ELi28EEEENST_IJLi29EEEEEEENST_IJLi26ELi27ELi28ELi29EEEElEENSB_INS5_IJSR_SP_SP_SR_SG_SG_S2D_S2F_EEENS5_IJSU_SV_SW_SY_SX_SZ_S11_S10_EEENS5_IJS1P_SX_SY_S1Q_S11_S12_NST_IJLi9ELi10EEEES1D_EEENST_IJLi8ELi9ELi10ELi11EEEElEENS5_IJNSB_INS5_IJSK_SP_SP_NSQ_INS5_IJiNS2A_IiLi2EEENS2A_IiLi64EEEEEELb0EEES2Z_EEENS5_IJSU_SV_SW_SX_SY_EEENS5_IJS1P_SX_SY_NST_IJLi5ELi6ELi7EEEENST_IJLi8ELi9ELi10EEEEEEENST_IJLi5ELi6ELi7ELi8ELi9ELi10EEEElEEEEES36_NS_31BlockToCTileMap_M00_N00_M01_N01ILi128ELi128ES1Y_Lb0EEENS1_30ComputePtrOffsetOfStridedBatchILi1ELi1ELi1EvEELb1ELb0EEEvPKT0_S3E_T1_PT2_T3_T4_T5_iT6_T7_T8_T9_T10_T11_,"axG",@progbits,_ZN2ck16tensor_operation6device12_GLOBAL__N_137kernel_grouped_conv_fwd_dl_multiple_dINS_32GridwiseGemmDlMultipleD_km_kn_mnILi256EaiNS_5TupleIJaEEEaNS0_12element_wise11PassThroughES8_NS7_7AddReluELNS_25InMemoryDataOperationEnumE0ENS_16TensorDescriptorINS5_IJNS_5EmbedINS5_IJiiiiiEEESD_Lb0EEENS_11PassThroughIiEENS_3PadIiiiLb0EEESI_SI_SG_SG_NSC_INS5_IJiiEEESJ_Lb0EEESK_SK_SG_NS_23Merge_v2_magic_divisionINS5_IJiiiiEEEEESN_NS_8RightPadIiiLb0EEESP_NS_7UnMergeISJ_Lb0EEESG_EEENS5_IJNS_8SequenceIJLi0EEEENST_IJLi1EEEENST_IJLi2EEEENST_IJLi3EEEENST_IJLi4EEEENST_IJLi5EEEENST_IJLi6EEEENST_IJLi7EEEENST_IJLi8EEEENST_IJLi9EEEENST_IJLi10EEEENST_IJLi11ELi13ELi15ELi17EEEENST_IJLi12ELi14ELi16ELi18EEEENST_IJLi19EEEENST_IJLi20EEEENST_IJLi22EEEENST_IJLi21EEEEEEENS5_IJNST_IJLi1ELi2ELi3ELi4ELi5EEEES10_S11_S12_S13_S14_NST_IJLi11EEEENST_IJLi12ELi13EEEENST_IJLi14ELi15EEEENST_IJLi16ELi17EEEENST_IJLi18EEEES17_S18_S1A_S19_NST_IJLi23ELi24EEEENST_IJLi25EEEEEEENST_IJLi23ELi25ELi24EEEElEENSB_INS5_IJSR_SP_SP_SR_SG_EEENS5_IJSU_SV_SW_SY_SX_EEENS5_IJNST_IJLi1ELi2EEEESX_SY_NST_IJLi5ELi6EEEES11_EEENST_IJLi5ELi7ELi6EEEElEENSB_INS5_IJSK_SP_SP_EEENS5_IJSU_SV_SW_EEENS5_IJS1P_SX_SY_EEENST_IJLi3ELi4EEEElEELi128ELi128ELi16ELi4ELi4ELi4ELi1ENST_IJLi8ELi2EEEES1Z_NST_IJLi8ELi1ELi1ELi4EEEENST_IJLi2ELi1ELi128ELi1EEEENST_IJLi1ELi2ELi0ELi3EEEES22_NST_IJLi4ELi1ELi1ELi4EEEES22_NST_IJLi1ELi1ELi1ELi4EEEES20_S21_S22_S22_S23_S22_S24_NST_IJLi0ELi1ELi2ELi3ELi4ELi5EEEELi5ELi4EEEaNS5_IJPKaEEEaS8_S8_S9_NSB_INS5_IJSE_SG_SI_SI_SI_SG_SG_SK_SK_SK_SG_SN_SN_SP_SP_SR_SG_SG_NSQ_INS5_IJiNS_17integral_constantIiLi128EEEEEELb0EEENSF_INS2A_IiLi4EEEEEEEENS5_IJSU_SV_SW_SX_SY_SZ_S10_S11_S12_S13_S14_S15_S16_S17_S18_S19_S1A_NST_IJLi23EEEES1J_NST_IJLi24EEEEEEENS5_IJS1C_S10_S11_S12_S13_S14_S1D_S1E_S1F_S1G_S1H_S17_S18_S1A_S19_S1I_S1J_NST_IJLi26EEEENST_IJLi27ELi28EEEENST_IJLi29EEEEEEENST_IJLi26ELi27ELi28ELi29EEEElEENSB_INS5_IJSR_SP_SP_SR_SG_SG_S2D_S2F_EEENS5_IJSU_SV_SW_SY_SX_SZ_S11_S10_EEENS5_IJS1P_SX_SY_S1Q_S11_S12_NST_IJLi9ELi10EEEES1D_EEENST_IJLi8ELi9ELi10ELi11EEEElEENS5_IJNSB_INS5_IJSK_SP_SP_NSQ_INS5_IJiNS2A_IiLi2EEENS2A_IiLi64EEEEEELb0EEES2Z_EEENS5_IJSU_SV_SW_SX_SY_EEENS5_IJS1P_SX_SY_NST_IJLi5ELi6ELi7EEEENST_IJLi8ELi9ELi10EEEEEEENST_IJLi5ELi6ELi7ELi8ELi9ELi10EEEElEEEEES36_NS_31BlockToCTileMap_M00_N00_M01_N01ILi128ELi128ES1Y_Lb0EEENS1_30ComputePtrOffsetOfStridedBatchILi1ELi1ELi1EvEELb1ELb0EEEvPKT0_S3E_T1_PT2_T3_T4_T5_iT6_T7_T8_T9_T10_T11_,comdat
.Lfunc_end10:
	.size	_ZN2ck16tensor_operation6device12_GLOBAL__N_137kernel_grouped_conv_fwd_dl_multiple_dINS_32GridwiseGemmDlMultipleD_km_kn_mnILi256EaiNS_5TupleIJaEEEaNS0_12element_wise11PassThroughES8_NS7_7AddReluELNS_25InMemoryDataOperationEnumE0ENS_16TensorDescriptorINS5_IJNS_5EmbedINS5_IJiiiiiEEESD_Lb0EEENS_11PassThroughIiEENS_3PadIiiiLb0EEESI_SI_SG_SG_NSC_INS5_IJiiEEESJ_Lb0EEESK_SK_SG_NS_23Merge_v2_magic_divisionINS5_IJiiiiEEEEESN_NS_8RightPadIiiLb0EEESP_NS_7UnMergeISJ_Lb0EEESG_EEENS5_IJNS_8SequenceIJLi0EEEENST_IJLi1EEEENST_IJLi2EEEENST_IJLi3EEEENST_IJLi4EEEENST_IJLi5EEEENST_IJLi6EEEENST_IJLi7EEEENST_IJLi8EEEENST_IJLi9EEEENST_IJLi10EEEENST_IJLi11ELi13ELi15ELi17EEEENST_IJLi12ELi14ELi16ELi18EEEENST_IJLi19EEEENST_IJLi20EEEENST_IJLi22EEEENST_IJLi21EEEEEEENS5_IJNST_IJLi1ELi2ELi3ELi4ELi5EEEES10_S11_S12_S13_S14_NST_IJLi11EEEENST_IJLi12ELi13EEEENST_IJLi14ELi15EEEENST_IJLi16ELi17EEEENST_IJLi18EEEES17_S18_S1A_S19_NST_IJLi23ELi24EEEENST_IJLi25EEEEEEENST_IJLi23ELi25ELi24EEEElEENSB_INS5_IJSR_SP_SP_SR_SG_EEENS5_IJSU_SV_SW_SY_SX_EEENS5_IJNST_IJLi1ELi2EEEESX_SY_NST_IJLi5ELi6EEEES11_EEENST_IJLi5ELi7ELi6EEEElEENSB_INS5_IJSK_SP_SP_EEENS5_IJSU_SV_SW_EEENS5_IJS1P_SX_SY_EEENST_IJLi3ELi4EEEElEELi128ELi128ELi16ELi4ELi4ELi4ELi1ENST_IJLi8ELi2EEEES1Z_NST_IJLi8ELi1ELi1ELi4EEEENST_IJLi2ELi1ELi128ELi1EEEENST_IJLi1ELi2ELi0ELi3EEEES22_NST_IJLi4ELi1ELi1ELi4EEEES22_NST_IJLi1ELi1ELi1ELi4EEEES20_S21_S22_S22_S23_S22_S24_NST_IJLi0ELi1ELi2ELi3ELi4ELi5EEEELi5ELi4EEEaNS5_IJPKaEEEaS8_S8_S9_NSB_INS5_IJSE_SG_SI_SI_SI_SG_SG_SK_SK_SK_SG_SN_SN_SP_SP_SR_SG_SG_NSQ_INS5_IJiNS_17integral_constantIiLi128EEEEEELb0EEENSF_INS2A_IiLi4EEEEEEEENS5_IJSU_SV_SW_SX_SY_SZ_S10_S11_S12_S13_S14_S15_S16_S17_S18_S19_S1A_NST_IJLi23EEEES1J_NST_IJLi24EEEEEEENS5_IJS1C_S10_S11_S12_S13_S14_S1D_S1E_S1F_S1G_S1H_S17_S18_S1A_S19_S1I_S1J_NST_IJLi26EEEENST_IJLi27ELi28EEEENST_IJLi29EEEEEEENST_IJLi26ELi27ELi28ELi29EEEElEENSB_INS5_IJSR_SP_SP_SR_SG_SG_S2D_S2F_EEENS5_IJSU_SV_SW_SY_SX_SZ_S11_S10_EEENS5_IJS1P_SX_SY_S1Q_S11_S12_NST_IJLi9ELi10EEEES1D_EEENST_IJLi8ELi9ELi10ELi11EEEElEENS5_IJNSB_INS5_IJSK_SP_SP_NSQ_INS5_IJiNS2A_IiLi2EEENS2A_IiLi64EEEEEELb0EEES2Z_EEENS5_IJSU_SV_SW_SX_SY_EEENS5_IJS1P_SX_SY_NST_IJLi5ELi6ELi7EEEENST_IJLi8ELi9ELi10EEEEEEENST_IJLi5ELi6ELi7ELi8ELi9ELi10EEEElEEEEES36_NS_31BlockToCTileMap_M00_N00_M01_N01ILi128ELi128ES1Y_Lb0EEENS1_30ComputePtrOffsetOfStridedBatchILi1ELi1ELi1EvEELb1ELb0EEEvPKT0_S3E_T1_PT2_T3_T4_T5_iT6_T7_T8_T9_T10_T11_, .Lfunc_end10-_ZN2ck16tensor_operation6device12_GLOBAL__N_137kernel_grouped_conv_fwd_dl_multiple_dINS_32GridwiseGemmDlMultipleD_km_kn_mnILi256EaiNS_5TupleIJaEEEaNS0_12element_wise11PassThroughES8_NS7_7AddReluELNS_25InMemoryDataOperationEnumE0ENS_16TensorDescriptorINS5_IJNS_5EmbedINS5_IJiiiiiEEESD_Lb0EEENS_11PassThroughIiEENS_3PadIiiiLb0EEESI_SI_SG_SG_NSC_INS5_IJiiEEESJ_Lb0EEESK_SK_SG_NS_23Merge_v2_magic_divisionINS5_IJiiiiEEEEESN_NS_8RightPadIiiLb0EEESP_NS_7UnMergeISJ_Lb0EEESG_EEENS5_IJNS_8SequenceIJLi0EEEENST_IJLi1EEEENST_IJLi2EEEENST_IJLi3EEEENST_IJLi4EEEENST_IJLi5EEEENST_IJLi6EEEENST_IJLi7EEEENST_IJLi8EEEENST_IJLi9EEEENST_IJLi10EEEENST_IJLi11ELi13ELi15ELi17EEEENST_IJLi12ELi14ELi16ELi18EEEENST_IJLi19EEEENST_IJLi20EEEENST_IJLi22EEEENST_IJLi21EEEEEEENS5_IJNST_IJLi1ELi2ELi3ELi4ELi5EEEES10_S11_S12_S13_S14_NST_IJLi11EEEENST_IJLi12ELi13EEEENST_IJLi14ELi15EEEENST_IJLi16ELi17EEEENST_IJLi18EEEES17_S18_S1A_S19_NST_IJLi23ELi24EEEENST_IJLi25EEEEEEENST_IJLi23ELi25ELi24EEEElEENSB_INS5_IJSR_SP_SP_SR_SG_EEENS5_IJSU_SV_SW_SY_SX_EEENS5_IJNST_IJLi1ELi2EEEESX_SY_NST_IJLi5ELi6EEEES11_EEENST_IJLi5ELi7ELi6EEEElEENSB_INS5_IJSK_SP_SP_EEENS5_IJSU_SV_SW_EEENS5_IJS1P_SX_SY_EEENST_IJLi3ELi4EEEElEELi128ELi128ELi16ELi4ELi4ELi4ELi1ENST_IJLi8ELi2EEEES1Z_NST_IJLi8ELi1ELi1ELi4EEEENST_IJLi2ELi1ELi128ELi1EEEENST_IJLi1ELi2ELi0ELi3EEEES22_NST_IJLi4ELi1ELi1ELi4EEEES22_NST_IJLi1ELi1ELi1ELi4EEEES20_S21_S22_S22_S23_S22_S24_NST_IJLi0ELi1ELi2ELi3ELi4ELi5EEEELi5ELi4EEEaNS5_IJPKaEEEaS8_S8_S9_NSB_INS5_IJSE_SG_SI_SI_SI_SG_SG_SK_SK_SK_SG_SN_SN_SP_SP_SR_SG_SG_NSQ_INS5_IJiNS_17integral_constantIiLi128EEEEEELb0EEENSF_INS2A_IiLi4EEEEEEEENS5_IJSU_SV_SW_SX_SY_SZ_S10_S11_S12_S13_S14_S15_S16_S17_S18_S19_S1A_NST_IJLi23EEEES1J_NST_IJLi24EEEEEEENS5_IJS1C_S10_S11_S12_S13_S14_S1D_S1E_S1F_S1G_S1H_S17_S18_S1A_S19_S1I_S1J_NST_IJLi26EEEENST_IJLi27ELi28EEEENST_IJLi29EEEEEEENST_IJLi26ELi27ELi28ELi29EEEElEENSB_INS5_IJSR_SP_SP_SR_SG_SG_S2D_S2F_EEENS5_IJSU_SV_SW_SY_SX_SZ_S11_S10_EEENS5_IJS1P_SX_SY_S1Q_S11_S12_NST_IJLi9ELi10EEEES1D_EEENST_IJLi8ELi9ELi10ELi11EEEElEENS5_IJNSB_INS5_IJSK_SP_SP_NSQ_INS5_IJiNS2A_IiLi2EEENS2A_IiLi64EEEEEELb0EEES2Z_EEENS5_IJSU_SV_SW_SX_SY_EEENS5_IJS1P_SX_SY_NST_IJLi5ELi6ELi7EEEENST_IJLi8ELi9ELi10EEEEEEENST_IJLi5ELi6ELi7ELi8ELi9ELi10EEEElEEEEES36_NS_31BlockToCTileMap_M00_N00_M01_N01ILi128ELi128ES1Y_Lb0EEENS1_30ComputePtrOffsetOfStridedBatchILi1ELi1ELi1EvEELb1ELb0EEEvPKT0_S3E_T1_PT2_T3_T4_T5_iT6_T7_T8_T9_T10_T11_
                                        ; -- End function
	.set _ZN2ck16tensor_operation6device12_GLOBAL__N_137kernel_grouped_conv_fwd_dl_multiple_dINS_32GridwiseGemmDlMultipleD_km_kn_mnILi256EaiNS_5TupleIJaEEEaNS0_12element_wise11PassThroughES8_NS7_7AddReluELNS_25InMemoryDataOperationEnumE0ENS_16TensorDescriptorINS5_IJNS_5EmbedINS5_IJiiiiiEEESD_Lb0EEENS_11PassThroughIiEENS_3PadIiiiLb0EEESI_SI_SG_SG_NSC_INS5_IJiiEEESJ_Lb0EEESK_SK_SG_NS_23Merge_v2_magic_divisionINS5_IJiiiiEEEEESN_NS_8RightPadIiiLb0EEESP_NS_7UnMergeISJ_Lb0EEESG_EEENS5_IJNS_8SequenceIJLi0EEEENST_IJLi1EEEENST_IJLi2EEEENST_IJLi3EEEENST_IJLi4EEEENST_IJLi5EEEENST_IJLi6EEEENST_IJLi7EEEENST_IJLi8EEEENST_IJLi9EEEENST_IJLi10EEEENST_IJLi11ELi13ELi15ELi17EEEENST_IJLi12ELi14ELi16ELi18EEEENST_IJLi19EEEENST_IJLi20EEEENST_IJLi22EEEENST_IJLi21EEEEEEENS5_IJNST_IJLi1ELi2ELi3ELi4ELi5EEEES10_S11_S12_S13_S14_NST_IJLi11EEEENST_IJLi12ELi13EEEENST_IJLi14ELi15EEEENST_IJLi16ELi17EEEENST_IJLi18EEEES17_S18_S1A_S19_NST_IJLi23ELi24EEEENST_IJLi25EEEEEEENST_IJLi23ELi25ELi24EEEElEENSB_INS5_IJSR_SP_SP_SR_SG_EEENS5_IJSU_SV_SW_SY_SX_EEENS5_IJNST_IJLi1ELi2EEEESX_SY_NST_IJLi5ELi6EEEES11_EEENST_IJLi5ELi7ELi6EEEElEENSB_INS5_IJSK_SP_SP_EEENS5_IJSU_SV_SW_EEENS5_IJS1P_SX_SY_EEENST_IJLi3ELi4EEEElEELi128ELi128ELi16ELi4ELi4ELi4ELi1ENST_IJLi8ELi2EEEES1Z_NST_IJLi8ELi1ELi1ELi4EEEENST_IJLi2ELi1ELi128ELi1EEEENST_IJLi1ELi2ELi0ELi3EEEES22_NST_IJLi4ELi1ELi1ELi4EEEES22_NST_IJLi1ELi1ELi1ELi4EEEES20_S21_S22_S22_S23_S22_S24_NST_IJLi0ELi1ELi2ELi3ELi4ELi5EEEELi5ELi4EEEaNS5_IJPKaEEEaS8_S8_S9_NSB_INS5_IJSE_SG_SI_SI_SI_SG_SG_SK_SK_SK_SG_SN_SN_SP_SP_SR_SG_SG_NSQ_INS5_IJiNS_17integral_constantIiLi128EEEEEELb0EEENSF_INS2A_IiLi4EEEEEEEENS5_IJSU_SV_SW_SX_SY_SZ_S10_S11_S12_S13_S14_S15_S16_S17_S18_S19_S1A_NST_IJLi23EEEES1J_NST_IJLi24EEEEEEENS5_IJS1C_S10_S11_S12_S13_S14_S1D_S1E_S1F_S1G_S1H_S17_S18_S1A_S19_S1I_S1J_NST_IJLi26EEEENST_IJLi27ELi28EEEENST_IJLi29EEEEEEENST_IJLi26ELi27ELi28ELi29EEEElEENSB_INS5_IJSR_SP_SP_SR_SG_SG_S2D_S2F_EEENS5_IJSU_SV_SW_SY_SX_SZ_S11_S10_EEENS5_IJS1P_SX_SY_S1Q_S11_S12_NST_IJLi9ELi10EEEES1D_EEENST_IJLi8ELi9ELi10ELi11EEEElEENS5_IJNSB_INS5_IJSK_SP_SP_NSQ_INS5_IJiNS2A_IiLi2EEENS2A_IiLi64EEEEEELb0EEES2Z_EEENS5_IJSU_SV_SW_SX_SY_EEENS5_IJS1P_SX_SY_NST_IJLi5ELi6ELi7EEEENST_IJLi8ELi9ELi10EEEEEEENST_IJLi5ELi6ELi7ELi8ELi9ELi10EEEElEEEEES36_NS_31BlockToCTileMap_M00_N00_M01_N01ILi128ELi128ES1Y_Lb0EEENS1_30ComputePtrOffsetOfStridedBatchILi1ELi1ELi1EvEELb1ELb0EEEvPKT0_S3E_T1_PT2_T3_T4_T5_iT6_T7_T8_T9_T10_T11_.num_vgpr, 203
	.set _ZN2ck16tensor_operation6device12_GLOBAL__N_137kernel_grouped_conv_fwd_dl_multiple_dINS_32GridwiseGemmDlMultipleD_km_kn_mnILi256EaiNS_5TupleIJaEEEaNS0_12element_wise11PassThroughES8_NS7_7AddReluELNS_25InMemoryDataOperationEnumE0ENS_16TensorDescriptorINS5_IJNS_5EmbedINS5_IJiiiiiEEESD_Lb0EEENS_11PassThroughIiEENS_3PadIiiiLb0EEESI_SI_SG_SG_NSC_INS5_IJiiEEESJ_Lb0EEESK_SK_SG_NS_23Merge_v2_magic_divisionINS5_IJiiiiEEEEESN_NS_8RightPadIiiLb0EEESP_NS_7UnMergeISJ_Lb0EEESG_EEENS5_IJNS_8SequenceIJLi0EEEENST_IJLi1EEEENST_IJLi2EEEENST_IJLi3EEEENST_IJLi4EEEENST_IJLi5EEEENST_IJLi6EEEENST_IJLi7EEEENST_IJLi8EEEENST_IJLi9EEEENST_IJLi10EEEENST_IJLi11ELi13ELi15ELi17EEEENST_IJLi12ELi14ELi16ELi18EEEENST_IJLi19EEEENST_IJLi20EEEENST_IJLi22EEEENST_IJLi21EEEEEEENS5_IJNST_IJLi1ELi2ELi3ELi4ELi5EEEES10_S11_S12_S13_S14_NST_IJLi11EEEENST_IJLi12ELi13EEEENST_IJLi14ELi15EEEENST_IJLi16ELi17EEEENST_IJLi18EEEES17_S18_S1A_S19_NST_IJLi23ELi24EEEENST_IJLi25EEEEEEENST_IJLi23ELi25ELi24EEEElEENSB_INS5_IJSR_SP_SP_SR_SG_EEENS5_IJSU_SV_SW_SY_SX_EEENS5_IJNST_IJLi1ELi2EEEESX_SY_NST_IJLi5ELi6EEEES11_EEENST_IJLi5ELi7ELi6EEEElEENSB_INS5_IJSK_SP_SP_EEENS5_IJSU_SV_SW_EEENS5_IJS1P_SX_SY_EEENST_IJLi3ELi4EEEElEELi128ELi128ELi16ELi4ELi4ELi4ELi1ENST_IJLi8ELi2EEEES1Z_NST_IJLi8ELi1ELi1ELi4EEEENST_IJLi2ELi1ELi128ELi1EEEENST_IJLi1ELi2ELi0ELi3EEEES22_NST_IJLi4ELi1ELi1ELi4EEEES22_NST_IJLi1ELi1ELi1ELi4EEEES20_S21_S22_S22_S23_S22_S24_NST_IJLi0ELi1ELi2ELi3ELi4ELi5EEEELi5ELi4EEEaNS5_IJPKaEEEaS8_S8_S9_NSB_INS5_IJSE_SG_SI_SI_SI_SG_SG_SK_SK_SK_SG_SN_SN_SP_SP_SR_SG_SG_NSQ_INS5_IJiNS_17integral_constantIiLi128EEEEEELb0EEENSF_INS2A_IiLi4EEEEEEEENS5_IJSU_SV_SW_SX_SY_SZ_S10_S11_S12_S13_S14_S15_S16_S17_S18_S19_S1A_NST_IJLi23EEEES1J_NST_IJLi24EEEEEEENS5_IJS1C_S10_S11_S12_S13_S14_S1D_S1E_S1F_S1G_S1H_S17_S18_S1A_S19_S1I_S1J_NST_IJLi26EEEENST_IJLi27ELi28EEEENST_IJLi29EEEEEEENST_IJLi26ELi27ELi28ELi29EEEElEENSB_INS5_IJSR_SP_SP_SR_SG_SG_S2D_S2F_EEENS5_IJSU_SV_SW_SY_SX_SZ_S11_S10_EEENS5_IJS1P_SX_SY_S1Q_S11_S12_NST_IJLi9ELi10EEEES1D_EEENST_IJLi8ELi9ELi10ELi11EEEElEENS5_IJNSB_INS5_IJSK_SP_SP_NSQ_INS5_IJiNS2A_IiLi2EEENS2A_IiLi64EEEEEELb0EEES2Z_EEENS5_IJSU_SV_SW_SX_SY_EEENS5_IJS1P_SX_SY_NST_IJLi5ELi6ELi7EEEENST_IJLi8ELi9ELi10EEEEEEENST_IJLi5ELi6ELi7ELi8ELi9ELi10EEEElEEEEES36_NS_31BlockToCTileMap_M00_N00_M01_N01ILi128ELi128ES1Y_Lb0EEENS1_30ComputePtrOffsetOfStridedBatchILi1ELi1ELi1EvEELb1ELb0EEEvPKT0_S3E_T1_PT2_T3_T4_T5_iT6_T7_T8_T9_T10_T11_.num_agpr, 0
	.set _ZN2ck16tensor_operation6device12_GLOBAL__N_137kernel_grouped_conv_fwd_dl_multiple_dINS_32GridwiseGemmDlMultipleD_km_kn_mnILi256EaiNS_5TupleIJaEEEaNS0_12element_wise11PassThroughES8_NS7_7AddReluELNS_25InMemoryDataOperationEnumE0ENS_16TensorDescriptorINS5_IJNS_5EmbedINS5_IJiiiiiEEESD_Lb0EEENS_11PassThroughIiEENS_3PadIiiiLb0EEESI_SI_SG_SG_NSC_INS5_IJiiEEESJ_Lb0EEESK_SK_SG_NS_23Merge_v2_magic_divisionINS5_IJiiiiEEEEESN_NS_8RightPadIiiLb0EEESP_NS_7UnMergeISJ_Lb0EEESG_EEENS5_IJNS_8SequenceIJLi0EEEENST_IJLi1EEEENST_IJLi2EEEENST_IJLi3EEEENST_IJLi4EEEENST_IJLi5EEEENST_IJLi6EEEENST_IJLi7EEEENST_IJLi8EEEENST_IJLi9EEEENST_IJLi10EEEENST_IJLi11ELi13ELi15ELi17EEEENST_IJLi12ELi14ELi16ELi18EEEENST_IJLi19EEEENST_IJLi20EEEENST_IJLi22EEEENST_IJLi21EEEEEEENS5_IJNST_IJLi1ELi2ELi3ELi4ELi5EEEES10_S11_S12_S13_S14_NST_IJLi11EEEENST_IJLi12ELi13EEEENST_IJLi14ELi15EEEENST_IJLi16ELi17EEEENST_IJLi18EEEES17_S18_S1A_S19_NST_IJLi23ELi24EEEENST_IJLi25EEEEEEENST_IJLi23ELi25ELi24EEEElEENSB_INS5_IJSR_SP_SP_SR_SG_EEENS5_IJSU_SV_SW_SY_SX_EEENS5_IJNST_IJLi1ELi2EEEESX_SY_NST_IJLi5ELi6EEEES11_EEENST_IJLi5ELi7ELi6EEEElEENSB_INS5_IJSK_SP_SP_EEENS5_IJSU_SV_SW_EEENS5_IJS1P_SX_SY_EEENST_IJLi3ELi4EEEElEELi128ELi128ELi16ELi4ELi4ELi4ELi1ENST_IJLi8ELi2EEEES1Z_NST_IJLi8ELi1ELi1ELi4EEEENST_IJLi2ELi1ELi128ELi1EEEENST_IJLi1ELi2ELi0ELi3EEEES22_NST_IJLi4ELi1ELi1ELi4EEEES22_NST_IJLi1ELi1ELi1ELi4EEEES20_S21_S22_S22_S23_S22_S24_NST_IJLi0ELi1ELi2ELi3ELi4ELi5EEEELi5ELi4EEEaNS5_IJPKaEEEaS8_S8_S9_NSB_INS5_IJSE_SG_SI_SI_SI_SG_SG_SK_SK_SK_SG_SN_SN_SP_SP_SR_SG_SG_NSQ_INS5_IJiNS_17integral_constantIiLi128EEEEEELb0EEENSF_INS2A_IiLi4EEEEEEEENS5_IJSU_SV_SW_SX_SY_SZ_S10_S11_S12_S13_S14_S15_S16_S17_S18_S19_S1A_NST_IJLi23EEEES1J_NST_IJLi24EEEEEEENS5_IJS1C_S10_S11_S12_S13_S14_S1D_S1E_S1F_S1G_S1H_S17_S18_S1A_S19_S1I_S1J_NST_IJLi26EEEENST_IJLi27ELi28EEEENST_IJLi29EEEEEEENST_IJLi26ELi27ELi28ELi29EEEElEENSB_INS5_IJSR_SP_SP_SR_SG_SG_S2D_S2F_EEENS5_IJSU_SV_SW_SY_SX_SZ_S11_S10_EEENS5_IJS1P_SX_SY_S1Q_S11_S12_NST_IJLi9ELi10EEEES1D_EEENST_IJLi8ELi9ELi10ELi11EEEElEENS5_IJNSB_INS5_IJSK_SP_SP_NSQ_INS5_IJiNS2A_IiLi2EEENS2A_IiLi64EEEEEELb0EEES2Z_EEENS5_IJSU_SV_SW_SX_SY_EEENS5_IJS1P_SX_SY_NST_IJLi5ELi6ELi7EEEENST_IJLi8ELi9ELi10EEEEEEENST_IJLi5ELi6ELi7ELi8ELi9ELi10EEEElEEEEES36_NS_31BlockToCTileMap_M00_N00_M01_N01ILi128ELi128ES1Y_Lb0EEENS1_30ComputePtrOffsetOfStridedBatchILi1ELi1ELi1EvEELb1ELb0EEEvPKT0_S3E_T1_PT2_T3_T4_T5_iT6_T7_T8_T9_T10_T11_.numbered_sgpr, 82
	.set _ZN2ck16tensor_operation6device12_GLOBAL__N_137kernel_grouped_conv_fwd_dl_multiple_dINS_32GridwiseGemmDlMultipleD_km_kn_mnILi256EaiNS_5TupleIJaEEEaNS0_12element_wise11PassThroughES8_NS7_7AddReluELNS_25InMemoryDataOperationEnumE0ENS_16TensorDescriptorINS5_IJNS_5EmbedINS5_IJiiiiiEEESD_Lb0EEENS_11PassThroughIiEENS_3PadIiiiLb0EEESI_SI_SG_SG_NSC_INS5_IJiiEEESJ_Lb0EEESK_SK_SG_NS_23Merge_v2_magic_divisionINS5_IJiiiiEEEEESN_NS_8RightPadIiiLb0EEESP_NS_7UnMergeISJ_Lb0EEESG_EEENS5_IJNS_8SequenceIJLi0EEEENST_IJLi1EEEENST_IJLi2EEEENST_IJLi3EEEENST_IJLi4EEEENST_IJLi5EEEENST_IJLi6EEEENST_IJLi7EEEENST_IJLi8EEEENST_IJLi9EEEENST_IJLi10EEEENST_IJLi11ELi13ELi15ELi17EEEENST_IJLi12ELi14ELi16ELi18EEEENST_IJLi19EEEENST_IJLi20EEEENST_IJLi22EEEENST_IJLi21EEEEEEENS5_IJNST_IJLi1ELi2ELi3ELi4ELi5EEEES10_S11_S12_S13_S14_NST_IJLi11EEEENST_IJLi12ELi13EEEENST_IJLi14ELi15EEEENST_IJLi16ELi17EEEENST_IJLi18EEEES17_S18_S1A_S19_NST_IJLi23ELi24EEEENST_IJLi25EEEEEEENST_IJLi23ELi25ELi24EEEElEENSB_INS5_IJSR_SP_SP_SR_SG_EEENS5_IJSU_SV_SW_SY_SX_EEENS5_IJNST_IJLi1ELi2EEEESX_SY_NST_IJLi5ELi6EEEES11_EEENST_IJLi5ELi7ELi6EEEElEENSB_INS5_IJSK_SP_SP_EEENS5_IJSU_SV_SW_EEENS5_IJS1P_SX_SY_EEENST_IJLi3ELi4EEEElEELi128ELi128ELi16ELi4ELi4ELi4ELi1ENST_IJLi8ELi2EEEES1Z_NST_IJLi8ELi1ELi1ELi4EEEENST_IJLi2ELi1ELi128ELi1EEEENST_IJLi1ELi2ELi0ELi3EEEES22_NST_IJLi4ELi1ELi1ELi4EEEES22_NST_IJLi1ELi1ELi1ELi4EEEES20_S21_S22_S22_S23_S22_S24_NST_IJLi0ELi1ELi2ELi3ELi4ELi5EEEELi5ELi4EEEaNS5_IJPKaEEEaS8_S8_S9_NSB_INS5_IJSE_SG_SI_SI_SI_SG_SG_SK_SK_SK_SG_SN_SN_SP_SP_SR_SG_SG_NSQ_INS5_IJiNS_17integral_constantIiLi128EEEEEELb0EEENSF_INS2A_IiLi4EEEEEEEENS5_IJSU_SV_SW_SX_SY_SZ_S10_S11_S12_S13_S14_S15_S16_S17_S18_S19_S1A_NST_IJLi23EEEES1J_NST_IJLi24EEEEEEENS5_IJS1C_S10_S11_S12_S13_S14_S1D_S1E_S1F_S1G_S1H_S17_S18_S1A_S19_S1I_S1J_NST_IJLi26EEEENST_IJLi27ELi28EEEENST_IJLi29EEEEEEENST_IJLi26ELi27ELi28ELi29EEEElEENSB_INS5_IJSR_SP_SP_SR_SG_SG_S2D_S2F_EEENS5_IJSU_SV_SW_SY_SX_SZ_S11_S10_EEENS5_IJS1P_SX_SY_S1Q_S11_S12_NST_IJLi9ELi10EEEES1D_EEENST_IJLi8ELi9ELi10ELi11EEEElEENS5_IJNSB_INS5_IJSK_SP_SP_NSQ_INS5_IJiNS2A_IiLi2EEENS2A_IiLi64EEEEEELb0EEES2Z_EEENS5_IJSU_SV_SW_SX_SY_EEENS5_IJS1P_SX_SY_NST_IJLi5ELi6ELi7EEEENST_IJLi8ELi9ELi10EEEEEEENST_IJLi5ELi6ELi7ELi8ELi9ELi10EEEElEEEEES36_NS_31BlockToCTileMap_M00_N00_M01_N01ILi128ELi128ES1Y_Lb0EEENS1_30ComputePtrOffsetOfStridedBatchILi1ELi1ELi1EvEELb1ELb0EEEvPKT0_S3E_T1_PT2_T3_T4_T5_iT6_T7_T8_T9_T10_T11_.num_named_barrier, 0
	.set _ZN2ck16tensor_operation6device12_GLOBAL__N_137kernel_grouped_conv_fwd_dl_multiple_dINS_32GridwiseGemmDlMultipleD_km_kn_mnILi256EaiNS_5TupleIJaEEEaNS0_12element_wise11PassThroughES8_NS7_7AddReluELNS_25InMemoryDataOperationEnumE0ENS_16TensorDescriptorINS5_IJNS_5EmbedINS5_IJiiiiiEEESD_Lb0EEENS_11PassThroughIiEENS_3PadIiiiLb0EEESI_SI_SG_SG_NSC_INS5_IJiiEEESJ_Lb0EEESK_SK_SG_NS_23Merge_v2_magic_divisionINS5_IJiiiiEEEEESN_NS_8RightPadIiiLb0EEESP_NS_7UnMergeISJ_Lb0EEESG_EEENS5_IJNS_8SequenceIJLi0EEEENST_IJLi1EEEENST_IJLi2EEEENST_IJLi3EEEENST_IJLi4EEEENST_IJLi5EEEENST_IJLi6EEEENST_IJLi7EEEENST_IJLi8EEEENST_IJLi9EEEENST_IJLi10EEEENST_IJLi11ELi13ELi15ELi17EEEENST_IJLi12ELi14ELi16ELi18EEEENST_IJLi19EEEENST_IJLi20EEEENST_IJLi22EEEENST_IJLi21EEEEEEENS5_IJNST_IJLi1ELi2ELi3ELi4ELi5EEEES10_S11_S12_S13_S14_NST_IJLi11EEEENST_IJLi12ELi13EEEENST_IJLi14ELi15EEEENST_IJLi16ELi17EEEENST_IJLi18EEEES17_S18_S1A_S19_NST_IJLi23ELi24EEEENST_IJLi25EEEEEEENST_IJLi23ELi25ELi24EEEElEENSB_INS5_IJSR_SP_SP_SR_SG_EEENS5_IJSU_SV_SW_SY_SX_EEENS5_IJNST_IJLi1ELi2EEEESX_SY_NST_IJLi5ELi6EEEES11_EEENST_IJLi5ELi7ELi6EEEElEENSB_INS5_IJSK_SP_SP_EEENS5_IJSU_SV_SW_EEENS5_IJS1P_SX_SY_EEENST_IJLi3ELi4EEEElEELi128ELi128ELi16ELi4ELi4ELi4ELi1ENST_IJLi8ELi2EEEES1Z_NST_IJLi8ELi1ELi1ELi4EEEENST_IJLi2ELi1ELi128ELi1EEEENST_IJLi1ELi2ELi0ELi3EEEES22_NST_IJLi4ELi1ELi1ELi4EEEES22_NST_IJLi1ELi1ELi1ELi4EEEES20_S21_S22_S22_S23_S22_S24_NST_IJLi0ELi1ELi2ELi3ELi4ELi5EEEELi5ELi4EEEaNS5_IJPKaEEEaS8_S8_S9_NSB_INS5_IJSE_SG_SI_SI_SI_SG_SG_SK_SK_SK_SG_SN_SN_SP_SP_SR_SG_SG_NSQ_INS5_IJiNS_17integral_constantIiLi128EEEEEELb0EEENSF_INS2A_IiLi4EEEEEEEENS5_IJSU_SV_SW_SX_SY_SZ_S10_S11_S12_S13_S14_S15_S16_S17_S18_S19_S1A_NST_IJLi23EEEES1J_NST_IJLi24EEEEEEENS5_IJS1C_S10_S11_S12_S13_S14_S1D_S1E_S1F_S1G_S1H_S17_S18_S1A_S19_S1I_S1J_NST_IJLi26EEEENST_IJLi27ELi28EEEENST_IJLi29EEEEEEENST_IJLi26ELi27ELi28ELi29EEEElEENSB_INS5_IJSR_SP_SP_SR_SG_SG_S2D_S2F_EEENS5_IJSU_SV_SW_SY_SX_SZ_S11_S10_EEENS5_IJS1P_SX_SY_S1Q_S11_S12_NST_IJLi9ELi10EEEES1D_EEENST_IJLi8ELi9ELi10ELi11EEEElEENS5_IJNSB_INS5_IJSK_SP_SP_NSQ_INS5_IJiNS2A_IiLi2EEENS2A_IiLi64EEEEEELb0EEES2Z_EEENS5_IJSU_SV_SW_SX_SY_EEENS5_IJS1P_SX_SY_NST_IJLi5ELi6ELi7EEEENST_IJLi8ELi9ELi10EEEEEEENST_IJLi5ELi6ELi7ELi8ELi9ELi10EEEElEEEEES36_NS_31BlockToCTileMap_M00_N00_M01_N01ILi128ELi128ES1Y_Lb0EEENS1_30ComputePtrOffsetOfStridedBatchILi1ELi1ELi1EvEELb1ELb0EEEvPKT0_S3E_T1_PT2_T3_T4_T5_iT6_T7_T8_T9_T10_T11_.private_seg_size, 0
	.set _ZN2ck16tensor_operation6device12_GLOBAL__N_137kernel_grouped_conv_fwd_dl_multiple_dINS_32GridwiseGemmDlMultipleD_km_kn_mnILi256EaiNS_5TupleIJaEEEaNS0_12element_wise11PassThroughES8_NS7_7AddReluELNS_25InMemoryDataOperationEnumE0ENS_16TensorDescriptorINS5_IJNS_5EmbedINS5_IJiiiiiEEESD_Lb0EEENS_11PassThroughIiEENS_3PadIiiiLb0EEESI_SI_SG_SG_NSC_INS5_IJiiEEESJ_Lb0EEESK_SK_SG_NS_23Merge_v2_magic_divisionINS5_IJiiiiEEEEESN_NS_8RightPadIiiLb0EEESP_NS_7UnMergeISJ_Lb0EEESG_EEENS5_IJNS_8SequenceIJLi0EEEENST_IJLi1EEEENST_IJLi2EEEENST_IJLi3EEEENST_IJLi4EEEENST_IJLi5EEEENST_IJLi6EEEENST_IJLi7EEEENST_IJLi8EEEENST_IJLi9EEEENST_IJLi10EEEENST_IJLi11ELi13ELi15ELi17EEEENST_IJLi12ELi14ELi16ELi18EEEENST_IJLi19EEEENST_IJLi20EEEENST_IJLi22EEEENST_IJLi21EEEEEEENS5_IJNST_IJLi1ELi2ELi3ELi4ELi5EEEES10_S11_S12_S13_S14_NST_IJLi11EEEENST_IJLi12ELi13EEEENST_IJLi14ELi15EEEENST_IJLi16ELi17EEEENST_IJLi18EEEES17_S18_S1A_S19_NST_IJLi23ELi24EEEENST_IJLi25EEEEEEENST_IJLi23ELi25ELi24EEEElEENSB_INS5_IJSR_SP_SP_SR_SG_EEENS5_IJSU_SV_SW_SY_SX_EEENS5_IJNST_IJLi1ELi2EEEESX_SY_NST_IJLi5ELi6EEEES11_EEENST_IJLi5ELi7ELi6EEEElEENSB_INS5_IJSK_SP_SP_EEENS5_IJSU_SV_SW_EEENS5_IJS1P_SX_SY_EEENST_IJLi3ELi4EEEElEELi128ELi128ELi16ELi4ELi4ELi4ELi1ENST_IJLi8ELi2EEEES1Z_NST_IJLi8ELi1ELi1ELi4EEEENST_IJLi2ELi1ELi128ELi1EEEENST_IJLi1ELi2ELi0ELi3EEEES22_NST_IJLi4ELi1ELi1ELi4EEEES22_NST_IJLi1ELi1ELi1ELi4EEEES20_S21_S22_S22_S23_S22_S24_NST_IJLi0ELi1ELi2ELi3ELi4ELi5EEEELi5ELi4EEEaNS5_IJPKaEEEaS8_S8_S9_NSB_INS5_IJSE_SG_SI_SI_SI_SG_SG_SK_SK_SK_SG_SN_SN_SP_SP_SR_SG_SG_NSQ_INS5_IJiNS_17integral_constantIiLi128EEEEEELb0EEENSF_INS2A_IiLi4EEEEEEEENS5_IJSU_SV_SW_SX_SY_SZ_S10_S11_S12_S13_S14_S15_S16_S17_S18_S19_S1A_NST_IJLi23EEEES1J_NST_IJLi24EEEEEEENS5_IJS1C_S10_S11_S12_S13_S14_S1D_S1E_S1F_S1G_S1H_S17_S18_S1A_S19_S1I_S1J_NST_IJLi26EEEENST_IJLi27ELi28EEEENST_IJLi29EEEEEEENST_IJLi26ELi27ELi28ELi29EEEElEENSB_INS5_IJSR_SP_SP_SR_SG_SG_S2D_S2F_EEENS5_IJSU_SV_SW_SY_SX_SZ_S11_S10_EEENS5_IJS1P_SX_SY_S1Q_S11_S12_NST_IJLi9ELi10EEEES1D_EEENST_IJLi8ELi9ELi10ELi11EEEElEENS5_IJNSB_INS5_IJSK_SP_SP_NSQ_INS5_IJiNS2A_IiLi2EEENS2A_IiLi64EEEEEELb0EEES2Z_EEENS5_IJSU_SV_SW_SX_SY_EEENS5_IJS1P_SX_SY_NST_IJLi5ELi6ELi7EEEENST_IJLi8ELi9ELi10EEEEEEENST_IJLi5ELi6ELi7ELi8ELi9ELi10EEEElEEEEES36_NS_31BlockToCTileMap_M00_N00_M01_N01ILi128ELi128ES1Y_Lb0EEENS1_30ComputePtrOffsetOfStridedBatchILi1ELi1ELi1EvEELb1ELb0EEEvPKT0_S3E_T1_PT2_T3_T4_T5_iT6_T7_T8_T9_T10_T11_.uses_vcc, 1
	.set _ZN2ck16tensor_operation6device12_GLOBAL__N_137kernel_grouped_conv_fwd_dl_multiple_dINS_32GridwiseGemmDlMultipleD_km_kn_mnILi256EaiNS_5TupleIJaEEEaNS0_12element_wise11PassThroughES8_NS7_7AddReluELNS_25InMemoryDataOperationEnumE0ENS_16TensorDescriptorINS5_IJNS_5EmbedINS5_IJiiiiiEEESD_Lb0EEENS_11PassThroughIiEENS_3PadIiiiLb0EEESI_SI_SG_SG_NSC_INS5_IJiiEEESJ_Lb0EEESK_SK_SG_NS_23Merge_v2_magic_divisionINS5_IJiiiiEEEEESN_NS_8RightPadIiiLb0EEESP_NS_7UnMergeISJ_Lb0EEESG_EEENS5_IJNS_8SequenceIJLi0EEEENST_IJLi1EEEENST_IJLi2EEEENST_IJLi3EEEENST_IJLi4EEEENST_IJLi5EEEENST_IJLi6EEEENST_IJLi7EEEENST_IJLi8EEEENST_IJLi9EEEENST_IJLi10EEEENST_IJLi11ELi13ELi15ELi17EEEENST_IJLi12ELi14ELi16ELi18EEEENST_IJLi19EEEENST_IJLi20EEEENST_IJLi22EEEENST_IJLi21EEEEEEENS5_IJNST_IJLi1ELi2ELi3ELi4ELi5EEEES10_S11_S12_S13_S14_NST_IJLi11EEEENST_IJLi12ELi13EEEENST_IJLi14ELi15EEEENST_IJLi16ELi17EEEENST_IJLi18EEEES17_S18_S1A_S19_NST_IJLi23ELi24EEEENST_IJLi25EEEEEEENST_IJLi23ELi25ELi24EEEElEENSB_INS5_IJSR_SP_SP_SR_SG_EEENS5_IJSU_SV_SW_SY_SX_EEENS5_IJNST_IJLi1ELi2EEEESX_SY_NST_IJLi5ELi6EEEES11_EEENST_IJLi5ELi7ELi6EEEElEENSB_INS5_IJSK_SP_SP_EEENS5_IJSU_SV_SW_EEENS5_IJS1P_SX_SY_EEENST_IJLi3ELi4EEEElEELi128ELi128ELi16ELi4ELi4ELi4ELi1ENST_IJLi8ELi2EEEES1Z_NST_IJLi8ELi1ELi1ELi4EEEENST_IJLi2ELi1ELi128ELi1EEEENST_IJLi1ELi2ELi0ELi3EEEES22_NST_IJLi4ELi1ELi1ELi4EEEES22_NST_IJLi1ELi1ELi1ELi4EEEES20_S21_S22_S22_S23_S22_S24_NST_IJLi0ELi1ELi2ELi3ELi4ELi5EEEELi5ELi4EEEaNS5_IJPKaEEEaS8_S8_S9_NSB_INS5_IJSE_SG_SI_SI_SI_SG_SG_SK_SK_SK_SG_SN_SN_SP_SP_SR_SG_SG_NSQ_INS5_IJiNS_17integral_constantIiLi128EEEEEELb0EEENSF_INS2A_IiLi4EEEEEEEENS5_IJSU_SV_SW_SX_SY_SZ_S10_S11_S12_S13_S14_S15_S16_S17_S18_S19_S1A_NST_IJLi23EEEES1J_NST_IJLi24EEEEEEENS5_IJS1C_S10_S11_S12_S13_S14_S1D_S1E_S1F_S1G_S1H_S17_S18_S1A_S19_S1I_S1J_NST_IJLi26EEEENST_IJLi27ELi28EEEENST_IJLi29EEEEEEENST_IJLi26ELi27ELi28ELi29EEEElEENSB_INS5_IJSR_SP_SP_SR_SG_SG_S2D_S2F_EEENS5_IJSU_SV_SW_SY_SX_SZ_S11_S10_EEENS5_IJS1P_SX_SY_S1Q_S11_S12_NST_IJLi9ELi10EEEES1D_EEENST_IJLi8ELi9ELi10ELi11EEEElEENS5_IJNSB_INS5_IJSK_SP_SP_NSQ_INS5_IJiNS2A_IiLi2EEENS2A_IiLi64EEEEEELb0EEES2Z_EEENS5_IJSU_SV_SW_SX_SY_EEENS5_IJS1P_SX_SY_NST_IJLi5ELi6ELi7EEEENST_IJLi8ELi9ELi10EEEEEEENST_IJLi5ELi6ELi7ELi8ELi9ELi10EEEElEEEEES36_NS_31BlockToCTileMap_M00_N00_M01_N01ILi128ELi128ES1Y_Lb0EEENS1_30ComputePtrOffsetOfStridedBatchILi1ELi1ELi1EvEELb1ELb0EEEvPKT0_S3E_T1_PT2_T3_T4_T5_iT6_T7_T8_T9_T10_T11_.uses_flat_scratch, 0
	.set _ZN2ck16tensor_operation6device12_GLOBAL__N_137kernel_grouped_conv_fwd_dl_multiple_dINS_32GridwiseGemmDlMultipleD_km_kn_mnILi256EaiNS_5TupleIJaEEEaNS0_12element_wise11PassThroughES8_NS7_7AddReluELNS_25InMemoryDataOperationEnumE0ENS_16TensorDescriptorINS5_IJNS_5EmbedINS5_IJiiiiiEEESD_Lb0EEENS_11PassThroughIiEENS_3PadIiiiLb0EEESI_SI_SG_SG_NSC_INS5_IJiiEEESJ_Lb0EEESK_SK_SG_NS_23Merge_v2_magic_divisionINS5_IJiiiiEEEEESN_NS_8RightPadIiiLb0EEESP_NS_7UnMergeISJ_Lb0EEESG_EEENS5_IJNS_8SequenceIJLi0EEEENST_IJLi1EEEENST_IJLi2EEEENST_IJLi3EEEENST_IJLi4EEEENST_IJLi5EEEENST_IJLi6EEEENST_IJLi7EEEENST_IJLi8EEEENST_IJLi9EEEENST_IJLi10EEEENST_IJLi11ELi13ELi15ELi17EEEENST_IJLi12ELi14ELi16ELi18EEEENST_IJLi19EEEENST_IJLi20EEEENST_IJLi22EEEENST_IJLi21EEEEEEENS5_IJNST_IJLi1ELi2ELi3ELi4ELi5EEEES10_S11_S12_S13_S14_NST_IJLi11EEEENST_IJLi12ELi13EEEENST_IJLi14ELi15EEEENST_IJLi16ELi17EEEENST_IJLi18EEEES17_S18_S1A_S19_NST_IJLi23ELi24EEEENST_IJLi25EEEEEEENST_IJLi23ELi25ELi24EEEElEENSB_INS5_IJSR_SP_SP_SR_SG_EEENS5_IJSU_SV_SW_SY_SX_EEENS5_IJNST_IJLi1ELi2EEEESX_SY_NST_IJLi5ELi6EEEES11_EEENST_IJLi5ELi7ELi6EEEElEENSB_INS5_IJSK_SP_SP_EEENS5_IJSU_SV_SW_EEENS5_IJS1P_SX_SY_EEENST_IJLi3ELi4EEEElEELi128ELi128ELi16ELi4ELi4ELi4ELi1ENST_IJLi8ELi2EEEES1Z_NST_IJLi8ELi1ELi1ELi4EEEENST_IJLi2ELi1ELi128ELi1EEEENST_IJLi1ELi2ELi0ELi3EEEES22_NST_IJLi4ELi1ELi1ELi4EEEES22_NST_IJLi1ELi1ELi1ELi4EEEES20_S21_S22_S22_S23_S22_S24_NST_IJLi0ELi1ELi2ELi3ELi4ELi5EEEELi5ELi4EEEaNS5_IJPKaEEEaS8_S8_S9_NSB_INS5_IJSE_SG_SI_SI_SI_SG_SG_SK_SK_SK_SG_SN_SN_SP_SP_SR_SG_SG_NSQ_INS5_IJiNS_17integral_constantIiLi128EEEEEELb0EEENSF_INS2A_IiLi4EEEEEEEENS5_IJSU_SV_SW_SX_SY_SZ_S10_S11_S12_S13_S14_S15_S16_S17_S18_S19_S1A_NST_IJLi23EEEES1J_NST_IJLi24EEEEEEENS5_IJS1C_S10_S11_S12_S13_S14_S1D_S1E_S1F_S1G_S1H_S17_S18_S1A_S19_S1I_S1J_NST_IJLi26EEEENST_IJLi27ELi28EEEENST_IJLi29EEEEEEENST_IJLi26ELi27ELi28ELi29EEEElEENSB_INS5_IJSR_SP_SP_SR_SG_SG_S2D_S2F_EEENS5_IJSU_SV_SW_SY_SX_SZ_S11_S10_EEENS5_IJS1P_SX_SY_S1Q_S11_S12_NST_IJLi9ELi10EEEES1D_EEENST_IJLi8ELi9ELi10ELi11EEEElEENS5_IJNSB_INS5_IJSK_SP_SP_NSQ_INS5_IJiNS2A_IiLi2EEENS2A_IiLi64EEEEEELb0EEES2Z_EEENS5_IJSU_SV_SW_SX_SY_EEENS5_IJS1P_SX_SY_NST_IJLi5ELi6ELi7EEEENST_IJLi8ELi9ELi10EEEEEEENST_IJLi5ELi6ELi7ELi8ELi9ELi10EEEElEEEEES36_NS_31BlockToCTileMap_M00_N00_M01_N01ILi128ELi128ES1Y_Lb0EEENS1_30ComputePtrOffsetOfStridedBatchILi1ELi1ELi1EvEELb1ELb0EEEvPKT0_S3E_T1_PT2_T3_T4_T5_iT6_T7_T8_T9_T10_T11_.has_dyn_sized_stack, 0
	.set _ZN2ck16tensor_operation6device12_GLOBAL__N_137kernel_grouped_conv_fwd_dl_multiple_dINS_32GridwiseGemmDlMultipleD_km_kn_mnILi256EaiNS_5TupleIJaEEEaNS0_12element_wise11PassThroughES8_NS7_7AddReluELNS_25InMemoryDataOperationEnumE0ENS_16TensorDescriptorINS5_IJNS_5EmbedINS5_IJiiiiiEEESD_Lb0EEENS_11PassThroughIiEENS_3PadIiiiLb0EEESI_SI_SG_SG_NSC_INS5_IJiiEEESJ_Lb0EEESK_SK_SG_NS_23Merge_v2_magic_divisionINS5_IJiiiiEEEEESN_NS_8RightPadIiiLb0EEESP_NS_7UnMergeISJ_Lb0EEESG_EEENS5_IJNS_8SequenceIJLi0EEEENST_IJLi1EEEENST_IJLi2EEEENST_IJLi3EEEENST_IJLi4EEEENST_IJLi5EEEENST_IJLi6EEEENST_IJLi7EEEENST_IJLi8EEEENST_IJLi9EEEENST_IJLi10EEEENST_IJLi11ELi13ELi15ELi17EEEENST_IJLi12ELi14ELi16ELi18EEEENST_IJLi19EEEENST_IJLi20EEEENST_IJLi22EEEENST_IJLi21EEEEEEENS5_IJNST_IJLi1ELi2ELi3ELi4ELi5EEEES10_S11_S12_S13_S14_NST_IJLi11EEEENST_IJLi12ELi13EEEENST_IJLi14ELi15EEEENST_IJLi16ELi17EEEENST_IJLi18EEEES17_S18_S1A_S19_NST_IJLi23ELi24EEEENST_IJLi25EEEEEEENST_IJLi23ELi25ELi24EEEElEENSB_INS5_IJSR_SP_SP_SR_SG_EEENS5_IJSU_SV_SW_SY_SX_EEENS5_IJNST_IJLi1ELi2EEEESX_SY_NST_IJLi5ELi6EEEES11_EEENST_IJLi5ELi7ELi6EEEElEENSB_INS5_IJSK_SP_SP_EEENS5_IJSU_SV_SW_EEENS5_IJS1P_SX_SY_EEENST_IJLi3ELi4EEEElEELi128ELi128ELi16ELi4ELi4ELi4ELi1ENST_IJLi8ELi2EEEES1Z_NST_IJLi8ELi1ELi1ELi4EEEENST_IJLi2ELi1ELi128ELi1EEEENST_IJLi1ELi2ELi0ELi3EEEES22_NST_IJLi4ELi1ELi1ELi4EEEES22_NST_IJLi1ELi1ELi1ELi4EEEES20_S21_S22_S22_S23_S22_S24_NST_IJLi0ELi1ELi2ELi3ELi4ELi5EEEELi5ELi4EEEaNS5_IJPKaEEEaS8_S8_S9_NSB_INS5_IJSE_SG_SI_SI_SI_SG_SG_SK_SK_SK_SG_SN_SN_SP_SP_SR_SG_SG_NSQ_INS5_IJiNS_17integral_constantIiLi128EEEEEELb0EEENSF_INS2A_IiLi4EEEEEEEENS5_IJSU_SV_SW_SX_SY_SZ_S10_S11_S12_S13_S14_S15_S16_S17_S18_S19_S1A_NST_IJLi23EEEES1J_NST_IJLi24EEEEEEENS5_IJS1C_S10_S11_S12_S13_S14_S1D_S1E_S1F_S1G_S1H_S17_S18_S1A_S19_S1I_S1J_NST_IJLi26EEEENST_IJLi27ELi28EEEENST_IJLi29EEEEEEENST_IJLi26ELi27ELi28ELi29EEEElEENSB_INS5_IJSR_SP_SP_SR_SG_SG_S2D_S2F_EEENS5_IJSU_SV_SW_SY_SX_SZ_S11_S10_EEENS5_IJS1P_SX_SY_S1Q_S11_S12_NST_IJLi9ELi10EEEES1D_EEENST_IJLi8ELi9ELi10ELi11EEEElEENS5_IJNSB_INS5_IJSK_SP_SP_NSQ_INS5_IJiNS2A_IiLi2EEENS2A_IiLi64EEEEEELb0EEES2Z_EEENS5_IJSU_SV_SW_SX_SY_EEENS5_IJS1P_SX_SY_NST_IJLi5ELi6ELi7EEEENST_IJLi8ELi9ELi10EEEEEEENST_IJLi5ELi6ELi7ELi8ELi9ELi10EEEElEEEEES36_NS_31BlockToCTileMap_M00_N00_M01_N01ILi128ELi128ES1Y_Lb0EEENS1_30ComputePtrOffsetOfStridedBatchILi1ELi1ELi1EvEELb1ELb0EEEvPKT0_S3E_T1_PT2_T3_T4_T5_iT6_T7_T8_T9_T10_T11_.has_recursion, 0
	.set _ZN2ck16tensor_operation6device12_GLOBAL__N_137kernel_grouped_conv_fwd_dl_multiple_dINS_32GridwiseGemmDlMultipleD_km_kn_mnILi256EaiNS_5TupleIJaEEEaNS0_12element_wise11PassThroughES8_NS7_7AddReluELNS_25InMemoryDataOperationEnumE0ENS_16TensorDescriptorINS5_IJNS_5EmbedINS5_IJiiiiiEEESD_Lb0EEENS_11PassThroughIiEENS_3PadIiiiLb0EEESI_SI_SG_SG_NSC_INS5_IJiiEEESJ_Lb0EEESK_SK_SG_NS_23Merge_v2_magic_divisionINS5_IJiiiiEEEEESN_NS_8RightPadIiiLb0EEESP_NS_7UnMergeISJ_Lb0EEESG_EEENS5_IJNS_8SequenceIJLi0EEEENST_IJLi1EEEENST_IJLi2EEEENST_IJLi3EEEENST_IJLi4EEEENST_IJLi5EEEENST_IJLi6EEEENST_IJLi7EEEENST_IJLi8EEEENST_IJLi9EEEENST_IJLi10EEEENST_IJLi11ELi13ELi15ELi17EEEENST_IJLi12ELi14ELi16ELi18EEEENST_IJLi19EEEENST_IJLi20EEEENST_IJLi22EEEENST_IJLi21EEEEEEENS5_IJNST_IJLi1ELi2ELi3ELi4ELi5EEEES10_S11_S12_S13_S14_NST_IJLi11EEEENST_IJLi12ELi13EEEENST_IJLi14ELi15EEEENST_IJLi16ELi17EEEENST_IJLi18EEEES17_S18_S1A_S19_NST_IJLi23ELi24EEEENST_IJLi25EEEEEEENST_IJLi23ELi25ELi24EEEElEENSB_INS5_IJSR_SP_SP_SR_SG_EEENS5_IJSU_SV_SW_SY_SX_EEENS5_IJNST_IJLi1ELi2EEEESX_SY_NST_IJLi5ELi6EEEES11_EEENST_IJLi5ELi7ELi6EEEElEENSB_INS5_IJSK_SP_SP_EEENS5_IJSU_SV_SW_EEENS5_IJS1P_SX_SY_EEENST_IJLi3ELi4EEEElEELi128ELi128ELi16ELi4ELi4ELi4ELi1ENST_IJLi8ELi2EEEES1Z_NST_IJLi8ELi1ELi1ELi4EEEENST_IJLi2ELi1ELi128ELi1EEEENST_IJLi1ELi2ELi0ELi3EEEES22_NST_IJLi4ELi1ELi1ELi4EEEES22_NST_IJLi1ELi1ELi1ELi4EEEES20_S21_S22_S22_S23_S22_S24_NST_IJLi0ELi1ELi2ELi3ELi4ELi5EEEELi5ELi4EEEaNS5_IJPKaEEEaS8_S8_S9_NSB_INS5_IJSE_SG_SI_SI_SI_SG_SG_SK_SK_SK_SG_SN_SN_SP_SP_SR_SG_SG_NSQ_INS5_IJiNS_17integral_constantIiLi128EEEEEELb0EEENSF_INS2A_IiLi4EEEEEEEENS5_IJSU_SV_SW_SX_SY_SZ_S10_S11_S12_S13_S14_S15_S16_S17_S18_S19_S1A_NST_IJLi23EEEES1J_NST_IJLi24EEEEEEENS5_IJS1C_S10_S11_S12_S13_S14_S1D_S1E_S1F_S1G_S1H_S17_S18_S1A_S19_S1I_S1J_NST_IJLi26EEEENST_IJLi27ELi28EEEENST_IJLi29EEEEEEENST_IJLi26ELi27ELi28ELi29EEEElEENSB_INS5_IJSR_SP_SP_SR_SG_SG_S2D_S2F_EEENS5_IJSU_SV_SW_SY_SX_SZ_S11_S10_EEENS5_IJS1P_SX_SY_S1Q_S11_S12_NST_IJLi9ELi10EEEES1D_EEENST_IJLi8ELi9ELi10ELi11EEEElEENS5_IJNSB_INS5_IJSK_SP_SP_NSQ_INS5_IJiNS2A_IiLi2EEENS2A_IiLi64EEEEEELb0EEES2Z_EEENS5_IJSU_SV_SW_SX_SY_EEENS5_IJS1P_SX_SY_NST_IJLi5ELi6ELi7EEEENST_IJLi8ELi9ELi10EEEEEEENST_IJLi5ELi6ELi7ELi8ELi9ELi10EEEElEEEEES36_NS_31BlockToCTileMap_M00_N00_M01_N01ILi128ELi128ES1Y_Lb0EEENS1_30ComputePtrOffsetOfStridedBatchILi1ELi1ELi1EvEELb1ELb0EEEvPKT0_S3E_T1_PT2_T3_T4_T5_iT6_T7_T8_T9_T10_T11_.has_indirect_call, 0
	.section	.AMDGPU.csdata,"",@progbits
; Kernel info:
; codeLenInByte = 34776
; TotalNumSgprs: 84
; NumVgprs: 203
; ScratchSize: 0
; MemoryBound: 0
; FloatMode: 240
; IeeeMode: 1
; LDSByteSize: 32768 bytes/workgroup (compile time only)
; SGPRBlocks: 0
; VGPRBlocks: 25
; NumSGPRsForWavesPerEU: 84
; NumVGPRsForWavesPerEU: 203
; Occupancy: 7
; WaveLimiterHint : 0
; COMPUTE_PGM_RSRC2:SCRATCH_EN: 0
; COMPUTE_PGM_RSRC2:USER_SGPR: 2
; COMPUTE_PGM_RSRC2:TRAP_HANDLER: 0
; COMPUTE_PGM_RSRC2:TGID_X_EN: 1
; COMPUTE_PGM_RSRC2:TGID_Y_EN: 0
; COMPUTE_PGM_RSRC2:TGID_Z_EN: 0
; COMPUTE_PGM_RSRC2:TIDIG_COMP_CNT: 0
	.section	.text._ZN2ck16tensor_operation6device12_GLOBAL__N_137kernel_grouped_conv_fwd_dl_multiple_dINS_32GridwiseGemmDlMultipleD_km_kn_mnILi256EaiNS_5TupleIJaEEEaNS0_12element_wise11PassThroughES8_NS7_7AddReluELNS_25InMemoryDataOperationEnumE0ENS_16TensorDescriptorINS5_IJNS_5EmbedINS5_IJiiiiiEEESD_Lb0EEENS_11PassThroughIiEENS_3PadIiiiLb0EEESI_SI_SG_SG_NSC_INS5_IJiiEEESJ_Lb0EEESK_SK_SG_NS_23Merge_v2_magic_divisionINS5_IJiiiiEEEEESN_NS_8RightPadIiiLb0EEESP_NS_7UnMergeISJ_Lb0EEESG_EEENS5_IJNS_8SequenceIJLi0EEEENST_IJLi1EEEENST_IJLi2EEEENST_IJLi3EEEENST_IJLi4EEEENST_IJLi5EEEENST_IJLi6EEEENST_IJLi7EEEENST_IJLi8EEEENST_IJLi9EEEENST_IJLi10EEEENST_IJLi11ELi13ELi15ELi17EEEENST_IJLi12ELi14ELi16ELi18EEEENST_IJLi19EEEENST_IJLi20EEEENST_IJLi22EEEENST_IJLi21EEEEEEENS5_IJNST_IJLi1ELi2ELi3ELi4ELi5EEEES10_S11_S12_S13_S14_NST_IJLi11EEEENST_IJLi12ELi13EEEENST_IJLi14ELi15EEEENST_IJLi16ELi17EEEENST_IJLi18EEEES17_S18_S1A_S19_NST_IJLi23ELi24EEEENST_IJLi25EEEEEEENST_IJLi23ELi25ELi24EEEElEENSB_INS5_IJSR_SP_SP_SR_SG_EEENS5_IJSU_SV_SW_SY_SX_EEENS5_IJNST_IJLi1ELi2EEEESX_SY_NST_IJLi5ELi6EEEES11_EEENST_IJLi5ELi7ELi6EEEElEENSB_INS5_IJSK_SP_SP_EEENS5_IJSU_SV_SW_EEENS5_IJS1P_SX_SY_EEENST_IJLi3ELi4EEEElEELi128ELi128ELi16ELi4ELi4ELi4ELi1ENST_IJLi8ELi2EEEES1Z_NST_IJLi8ELi1ELi1ELi4EEEENST_IJLi2ELi1ELi128ELi1EEEENST_IJLi1ELi2ELi0ELi3EEEES22_NST_IJLi4ELi1ELi1ELi4EEEES22_NST_IJLi1ELi1ELi1ELi4EEEES20_S21_S22_S22_S23_S22_S24_NST_IJLi0ELi1ELi2ELi3ELi4ELi5EEEELi5ELi4EEEaNS5_IJPKaEEEaS8_S8_S9_NSB_INS5_IJSE_SG_SI_SI_SI_SG_SG_SK_SK_SK_SG_SN_SN_SP_SP_SR_SG_SG_NSQ_INS5_IJiNS_17integral_constantIiLi128EEEEEELb0EEENSF_INS2A_IiLi4EEEEEEEENS5_IJSU_SV_SW_SX_SY_SZ_S10_S11_S12_S13_S14_S15_S16_S17_S18_S19_S1A_NST_IJLi23EEEES1J_NST_IJLi24EEEEEEENS5_IJS1C_S10_S11_S12_S13_S14_S1D_S1E_S1F_S1G_S1H_S17_S18_S1A_S19_S1I_S1J_NST_IJLi26EEEENST_IJLi27ELi28EEEENST_IJLi29EEEEEEENST_IJLi26ELi27ELi28ELi29EEEElEENSB_INS5_IJSR_SP_SP_SR_SG_SG_S2D_S2F_EEENS5_IJSU_SV_SW_SY_SX_SZ_S11_S10_EEENS5_IJS1P_SX_SY_S1Q_S11_S12_NST_IJLi9ELi10EEEES1D_EEENST_IJLi8ELi9ELi10ELi11EEEElEENS5_IJNSB_INS5_IJSK_SP_SP_NSQ_INS5_IJiNS2A_IiLi2EEENS2A_IiLi64EEEEEELb0EEES2Z_EEENS5_IJSU_SV_SW_SX_SY_EEENS5_IJS1P_SX_SY_NST_IJLi5ELi6ELi7EEEENST_IJLi8ELi9ELi10EEEEEEENST_IJLi5ELi6ELi7ELi8ELi9ELi10EEEElEEEEES36_NS_31BlockToCTileMap_M00_N00_M01_N01ILi128ELi128ES1Y_Lb0EEENS1_30ComputePtrOffsetOfStridedBatchILi1ELi1ELi1EvEELb0ELb1EEEvPKT0_S3E_T1_PT2_T3_T4_T5_iT6_T7_T8_T9_T10_T11_,"axG",@progbits,_ZN2ck16tensor_operation6device12_GLOBAL__N_137kernel_grouped_conv_fwd_dl_multiple_dINS_32GridwiseGemmDlMultipleD_km_kn_mnILi256EaiNS_5TupleIJaEEEaNS0_12element_wise11PassThroughES8_NS7_7AddReluELNS_25InMemoryDataOperationEnumE0ENS_16TensorDescriptorINS5_IJNS_5EmbedINS5_IJiiiiiEEESD_Lb0EEENS_11PassThroughIiEENS_3PadIiiiLb0EEESI_SI_SG_SG_NSC_INS5_IJiiEEESJ_Lb0EEESK_SK_SG_NS_23Merge_v2_magic_divisionINS5_IJiiiiEEEEESN_NS_8RightPadIiiLb0EEESP_NS_7UnMergeISJ_Lb0EEESG_EEENS5_IJNS_8SequenceIJLi0EEEENST_IJLi1EEEENST_IJLi2EEEENST_IJLi3EEEENST_IJLi4EEEENST_IJLi5EEEENST_IJLi6EEEENST_IJLi7EEEENST_IJLi8EEEENST_IJLi9EEEENST_IJLi10EEEENST_IJLi11ELi13ELi15ELi17EEEENST_IJLi12ELi14ELi16ELi18EEEENST_IJLi19EEEENST_IJLi20EEEENST_IJLi22EEEENST_IJLi21EEEEEEENS5_IJNST_IJLi1ELi2ELi3ELi4ELi5EEEES10_S11_S12_S13_S14_NST_IJLi11EEEENST_IJLi12ELi13EEEENST_IJLi14ELi15EEEENST_IJLi16ELi17EEEENST_IJLi18EEEES17_S18_S1A_S19_NST_IJLi23ELi24EEEENST_IJLi25EEEEEEENST_IJLi23ELi25ELi24EEEElEENSB_INS5_IJSR_SP_SP_SR_SG_EEENS5_IJSU_SV_SW_SY_SX_EEENS5_IJNST_IJLi1ELi2EEEESX_SY_NST_IJLi5ELi6EEEES11_EEENST_IJLi5ELi7ELi6EEEElEENSB_INS5_IJSK_SP_SP_EEENS5_IJSU_SV_SW_EEENS5_IJS1P_SX_SY_EEENST_IJLi3ELi4EEEElEELi128ELi128ELi16ELi4ELi4ELi4ELi1ENST_IJLi8ELi2EEEES1Z_NST_IJLi8ELi1ELi1ELi4EEEENST_IJLi2ELi1ELi128ELi1EEEENST_IJLi1ELi2ELi0ELi3EEEES22_NST_IJLi4ELi1ELi1ELi4EEEES22_NST_IJLi1ELi1ELi1ELi4EEEES20_S21_S22_S22_S23_S22_S24_NST_IJLi0ELi1ELi2ELi3ELi4ELi5EEEELi5ELi4EEEaNS5_IJPKaEEEaS8_S8_S9_NSB_INS5_IJSE_SG_SI_SI_SI_SG_SG_SK_SK_SK_SG_SN_SN_SP_SP_SR_SG_SG_NSQ_INS5_IJiNS_17integral_constantIiLi128EEEEEELb0EEENSF_INS2A_IiLi4EEEEEEEENS5_IJSU_SV_SW_SX_SY_SZ_S10_S11_S12_S13_S14_S15_S16_S17_S18_S19_S1A_NST_IJLi23EEEES1J_NST_IJLi24EEEEEEENS5_IJS1C_S10_S11_S12_S13_S14_S1D_S1E_S1F_S1G_S1H_S17_S18_S1A_S19_S1I_S1J_NST_IJLi26EEEENST_IJLi27ELi28EEEENST_IJLi29EEEEEEENST_IJLi26ELi27ELi28ELi29EEEElEENSB_INS5_IJSR_SP_SP_SR_SG_SG_S2D_S2F_EEENS5_IJSU_SV_SW_SY_SX_SZ_S11_S10_EEENS5_IJS1P_SX_SY_S1Q_S11_S12_NST_IJLi9ELi10EEEES1D_EEENST_IJLi8ELi9ELi10ELi11EEEElEENS5_IJNSB_INS5_IJSK_SP_SP_NSQ_INS5_IJiNS2A_IiLi2EEENS2A_IiLi64EEEEEELb0EEES2Z_EEENS5_IJSU_SV_SW_SX_SY_EEENS5_IJS1P_SX_SY_NST_IJLi5ELi6ELi7EEEENST_IJLi8ELi9ELi10EEEEEEENST_IJLi5ELi6ELi7ELi8ELi9ELi10EEEElEEEEES36_NS_31BlockToCTileMap_M00_N00_M01_N01ILi128ELi128ES1Y_Lb0EEENS1_30ComputePtrOffsetOfStridedBatchILi1ELi1ELi1EvEELb0ELb1EEEvPKT0_S3E_T1_PT2_T3_T4_T5_iT6_T7_T8_T9_T10_T11_,comdat
	.globl	_ZN2ck16tensor_operation6device12_GLOBAL__N_137kernel_grouped_conv_fwd_dl_multiple_dINS_32GridwiseGemmDlMultipleD_km_kn_mnILi256EaiNS_5TupleIJaEEEaNS0_12element_wise11PassThroughES8_NS7_7AddReluELNS_25InMemoryDataOperationEnumE0ENS_16TensorDescriptorINS5_IJNS_5EmbedINS5_IJiiiiiEEESD_Lb0EEENS_11PassThroughIiEENS_3PadIiiiLb0EEESI_SI_SG_SG_NSC_INS5_IJiiEEESJ_Lb0EEESK_SK_SG_NS_23Merge_v2_magic_divisionINS5_IJiiiiEEEEESN_NS_8RightPadIiiLb0EEESP_NS_7UnMergeISJ_Lb0EEESG_EEENS5_IJNS_8SequenceIJLi0EEEENST_IJLi1EEEENST_IJLi2EEEENST_IJLi3EEEENST_IJLi4EEEENST_IJLi5EEEENST_IJLi6EEEENST_IJLi7EEEENST_IJLi8EEEENST_IJLi9EEEENST_IJLi10EEEENST_IJLi11ELi13ELi15ELi17EEEENST_IJLi12ELi14ELi16ELi18EEEENST_IJLi19EEEENST_IJLi20EEEENST_IJLi22EEEENST_IJLi21EEEEEEENS5_IJNST_IJLi1ELi2ELi3ELi4ELi5EEEES10_S11_S12_S13_S14_NST_IJLi11EEEENST_IJLi12ELi13EEEENST_IJLi14ELi15EEEENST_IJLi16ELi17EEEENST_IJLi18EEEES17_S18_S1A_S19_NST_IJLi23ELi24EEEENST_IJLi25EEEEEEENST_IJLi23ELi25ELi24EEEElEENSB_INS5_IJSR_SP_SP_SR_SG_EEENS5_IJSU_SV_SW_SY_SX_EEENS5_IJNST_IJLi1ELi2EEEESX_SY_NST_IJLi5ELi6EEEES11_EEENST_IJLi5ELi7ELi6EEEElEENSB_INS5_IJSK_SP_SP_EEENS5_IJSU_SV_SW_EEENS5_IJS1P_SX_SY_EEENST_IJLi3ELi4EEEElEELi128ELi128ELi16ELi4ELi4ELi4ELi1ENST_IJLi8ELi2EEEES1Z_NST_IJLi8ELi1ELi1ELi4EEEENST_IJLi2ELi1ELi128ELi1EEEENST_IJLi1ELi2ELi0ELi3EEEES22_NST_IJLi4ELi1ELi1ELi4EEEES22_NST_IJLi1ELi1ELi1ELi4EEEES20_S21_S22_S22_S23_S22_S24_NST_IJLi0ELi1ELi2ELi3ELi4ELi5EEEELi5ELi4EEEaNS5_IJPKaEEEaS8_S8_S9_NSB_INS5_IJSE_SG_SI_SI_SI_SG_SG_SK_SK_SK_SG_SN_SN_SP_SP_SR_SG_SG_NSQ_INS5_IJiNS_17integral_constantIiLi128EEEEEELb0EEENSF_INS2A_IiLi4EEEEEEEENS5_IJSU_SV_SW_SX_SY_SZ_S10_S11_S12_S13_S14_S15_S16_S17_S18_S19_S1A_NST_IJLi23EEEES1J_NST_IJLi24EEEEEEENS5_IJS1C_S10_S11_S12_S13_S14_S1D_S1E_S1F_S1G_S1H_S17_S18_S1A_S19_S1I_S1J_NST_IJLi26EEEENST_IJLi27ELi28EEEENST_IJLi29EEEEEEENST_IJLi26ELi27ELi28ELi29EEEElEENSB_INS5_IJSR_SP_SP_SR_SG_SG_S2D_S2F_EEENS5_IJSU_SV_SW_SY_SX_SZ_S11_S10_EEENS5_IJS1P_SX_SY_S1Q_S11_S12_NST_IJLi9ELi10EEEES1D_EEENST_IJLi8ELi9ELi10ELi11EEEElEENS5_IJNSB_INS5_IJSK_SP_SP_NSQ_INS5_IJiNS2A_IiLi2EEENS2A_IiLi64EEEEEELb0EEES2Z_EEENS5_IJSU_SV_SW_SX_SY_EEENS5_IJS1P_SX_SY_NST_IJLi5ELi6ELi7EEEENST_IJLi8ELi9ELi10EEEEEEENST_IJLi5ELi6ELi7ELi8ELi9ELi10EEEElEEEEES36_NS_31BlockToCTileMap_M00_N00_M01_N01ILi128ELi128ES1Y_Lb0EEENS1_30ComputePtrOffsetOfStridedBatchILi1ELi1ELi1EvEELb0ELb1EEEvPKT0_S3E_T1_PT2_T3_T4_T5_iT6_T7_T8_T9_T10_T11_ ; -- Begin function _ZN2ck16tensor_operation6device12_GLOBAL__N_137kernel_grouped_conv_fwd_dl_multiple_dINS_32GridwiseGemmDlMultipleD_km_kn_mnILi256EaiNS_5TupleIJaEEEaNS0_12element_wise11PassThroughES8_NS7_7AddReluELNS_25InMemoryDataOperationEnumE0ENS_16TensorDescriptorINS5_IJNS_5EmbedINS5_IJiiiiiEEESD_Lb0EEENS_11PassThroughIiEENS_3PadIiiiLb0EEESI_SI_SG_SG_NSC_INS5_IJiiEEESJ_Lb0EEESK_SK_SG_NS_23Merge_v2_magic_divisionINS5_IJiiiiEEEEESN_NS_8RightPadIiiLb0EEESP_NS_7UnMergeISJ_Lb0EEESG_EEENS5_IJNS_8SequenceIJLi0EEEENST_IJLi1EEEENST_IJLi2EEEENST_IJLi3EEEENST_IJLi4EEEENST_IJLi5EEEENST_IJLi6EEEENST_IJLi7EEEENST_IJLi8EEEENST_IJLi9EEEENST_IJLi10EEEENST_IJLi11ELi13ELi15ELi17EEEENST_IJLi12ELi14ELi16ELi18EEEENST_IJLi19EEEENST_IJLi20EEEENST_IJLi22EEEENST_IJLi21EEEEEEENS5_IJNST_IJLi1ELi2ELi3ELi4ELi5EEEES10_S11_S12_S13_S14_NST_IJLi11EEEENST_IJLi12ELi13EEEENST_IJLi14ELi15EEEENST_IJLi16ELi17EEEENST_IJLi18EEEES17_S18_S1A_S19_NST_IJLi23ELi24EEEENST_IJLi25EEEEEEENST_IJLi23ELi25ELi24EEEElEENSB_INS5_IJSR_SP_SP_SR_SG_EEENS5_IJSU_SV_SW_SY_SX_EEENS5_IJNST_IJLi1ELi2EEEESX_SY_NST_IJLi5ELi6EEEES11_EEENST_IJLi5ELi7ELi6EEEElEENSB_INS5_IJSK_SP_SP_EEENS5_IJSU_SV_SW_EEENS5_IJS1P_SX_SY_EEENST_IJLi3ELi4EEEElEELi128ELi128ELi16ELi4ELi4ELi4ELi1ENST_IJLi8ELi2EEEES1Z_NST_IJLi8ELi1ELi1ELi4EEEENST_IJLi2ELi1ELi128ELi1EEEENST_IJLi1ELi2ELi0ELi3EEEES22_NST_IJLi4ELi1ELi1ELi4EEEES22_NST_IJLi1ELi1ELi1ELi4EEEES20_S21_S22_S22_S23_S22_S24_NST_IJLi0ELi1ELi2ELi3ELi4ELi5EEEELi5ELi4EEEaNS5_IJPKaEEEaS8_S8_S9_NSB_INS5_IJSE_SG_SI_SI_SI_SG_SG_SK_SK_SK_SG_SN_SN_SP_SP_SR_SG_SG_NSQ_INS5_IJiNS_17integral_constantIiLi128EEEEEELb0EEENSF_INS2A_IiLi4EEEEEEEENS5_IJSU_SV_SW_SX_SY_SZ_S10_S11_S12_S13_S14_S15_S16_S17_S18_S19_S1A_NST_IJLi23EEEES1J_NST_IJLi24EEEEEEENS5_IJS1C_S10_S11_S12_S13_S14_S1D_S1E_S1F_S1G_S1H_S17_S18_S1A_S19_S1I_S1J_NST_IJLi26EEEENST_IJLi27ELi28EEEENST_IJLi29EEEEEEENST_IJLi26ELi27ELi28ELi29EEEElEENSB_INS5_IJSR_SP_SP_SR_SG_SG_S2D_S2F_EEENS5_IJSU_SV_SW_SY_SX_SZ_S11_S10_EEENS5_IJS1P_SX_SY_S1Q_S11_S12_NST_IJLi9ELi10EEEES1D_EEENST_IJLi8ELi9ELi10ELi11EEEElEENS5_IJNSB_INS5_IJSK_SP_SP_NSQ_INS5_IJiNS2A_IiLi2EEENS2A_IiLi64EEEEEELb0EEES2Z_EEENS5_IJSU_SV_SW_SX_SY_EEENS5_IJS1P_SX_SY_NST_IJLi5ELi6ELi7EEEENST_IJLi8ELi9ELi10EEEEEEENST_IJLi5ELi6ELi7ELi8ELi9ELi10EEEElEEEEES36_NS_31BlockToCTileMap_M00_N00_M01_N01ILi128ELi128ES1Y_Lb0EEENS1_30ComputePtrOffsetOfStridedBatchILi1ELi1ELi1EvEELb0ELb1EEEvPKT0_S3E_T1_PT2_T3_T4_T5_iT6_T7_T8_T9_T10_T11_
	.p2align	8
	.type	_ZN2ck16tensor_operation6device12_GLOBAL__N_137kernel_grouped_conv_fwd_dl_multiple_dINS_32GridwiseGemmDlMultipleD_km_kn_mnILi256EaiNS_5TupleIJaEEEaNS0_12element_wise11PassThroughES8_NS7_7AddReluELNS_25InMemoryDataOperationEnumE0ENS_16TensorDescriptorINS5_IJNS_5EmbedINS5_IJiiiiiEEESD_Lb0EEENS_11PassThroughIiEENS_3PadIiiiLb0EEESI_SI_SG_SG_NSC_INS5_IJiiEEESJ_Lb0EEESK_SK_SG_NS_23Merge_v2_magic_divisionINS5_IJiiiiEEEEESN_NS_8RightPadIiiLb0EEESP_NS_7UnMergeISJ_Lb0EEESG_EEENS5_IJNS_8SequenceIJLi0EEEENST_IJLi1EEEENST_IJLi2EEEENST_IJLi3EEEENST_IJLi4EEEENST_IJLi5EEEENST_IJLi6EEEENST_IJLi7EEEENST_IJLi8EEEENST_IJLi9EEEENST_IJLi10EEEENST_IJLi11ELi13ELi15ELi17EEEENST_IJLi12ELi14ELi16ELi18EEEENST_IJLi19EEEENST_IJLi20EEEENST_IJLi22EEEENST_IJLi21EEEEEEENS5_IJNST_IJLi1ELi2ELi3ELi4ELi5EEEES10_S11_S12_S13_S14_NST_IJLi11EEEENST_IJLi12ELi13EEEENST_IJLi14ELi15EEEENST_IJLi16ELi17EEEENST_IJLi18EEEES17_S18_S1A_S19_NST_IJLi23ELi24EEEENST_IJLi25EEEEEEENST_IJLi23ELi25ELi24EEEElEENSB_INS5_IJSR_SP_SP_SR_SG_EEENS5_IJSU_SV_SW_SY_SX_EEENS5_IJNST_IJLi1ELi2EEEESX_SY_NST_IJLi5ELi6EEEES11_EEENST_IJLi5ELi7ELi6EEEElEENSB_INS5_IJSK_SP_SP_EEENS5_IJSU_SV_SW_EEENS5_IJS1P_SX_SY_EEENST_IJLi3ELi4EEEElEELi128ELi128ELi16ELi4ELi4ELi4ELi1ENST_IJLi8ELi2EEEES1Z_NST_IJLi8ELi1ELi1ELi4EEEENST_IJLi2ELi1ELi128ELi1EEEENST_IJLi1ELi2ELi0ELi3EEEES22_NST_IJLi4ELi1ELi1ELi4EEEES22_NST_IJLi1ELi1ELi1ELi4EEEES20_S21_S22_S22_S23_S22_S24_NST_IJLi0ELi1ELi2ELi3ELi4ELi5EEEELi5ELi4EEEaNS5_IJPKaEEEaS8_S8_S9_NSB_INS5_IJSE_SG_SI_SI_SI_SG_SG_SK_SK_SK_SG_SN_SN_SP_SP_SR_SG_SG_NSQ_INS5_IJiNS_17integral_constantIiLi128EEEEEELb0EEENSF_INS2A_IiLi4EEEEEEEENS5_IJSU_SV_SW_SX_SY_SZ_S10_S11_S12_S13_S14_S15_S16_S17_S18_S19_S1A_NST_IJLi23EEEES1J_NST_IJLi24EEEEEEENS5_IJS1C_S10_S11_S12_S13_S14_S1D_S1E_S1F_S1G_S1H_S17_S18_S1A_S19_S1I_S1J_NST_IJLi26EEEENST_IJLi27ELi28EEEENST_IJLi29EEEEEEENST_IJLi26ELi27ELi28ELi29EEEElEENSB_INS5_IJSR_SP_SP_SR_SG_SG_S2D_S2F_EEENS5_IJSU_SV_SW_SY_SX_SZ_S11_S10_EEENS5_IJS1P_SX_SY_S1Q_S11_S12_NST_IJLi9ELi10EEEES1D_EEENST_IJLi8ELi9ELi10ELi11EEEElEENS5_IJNSB_INS5_IJSK_SP_SP_NSQ_INS5_IJiNS2A_IiLi2EEENS2A_IiLi64EEEEEELb0EEES2Z_EEENS5_IJSU_SV_SW_SX_SY_EEENS5_IJS1P_SX_SY_NST_IJLi5ELi6ELi7EEEENST_IJLi8ELi9ELi10EEEEEEENST_IJLi5ELi6ELi7ELi8ELi9ELi10EEEElEEEEES36_NS_31BlockToCTileMap_M00_N00_M01_N01ILi128ELi128ES1Y_Lb0EEENS1_30ComputePtrOffsetOfStridedBatchILi1ELi1ELi1EvEELb0ELb1EEEvPKT0_S3E_T1_PT2_T3_T4_T5_iT6_T7_T8_T9_T10_T11_,@function
_ZN2ck16tensor_operation6device12_GLOBAL__N_137kernel_grouped_conv_fwd_dl_multiple_dINS_32GridwiseGemmDlMultipleD_km_kn_mnILi256EaiNS_5TupleIJaEEEaNS0_12element_wise11PassThroughES8_NS7_7AddReluELNS_25InMemoryDataOperationEnumE0ENS_16TensorDescriptorINS5_IJNS_5EmbedINS5_IJiiiiiEEESD_Lb0EEENS_11PassThroughIiEENS_3PadIiiiLb0EEESI_SI_SG_SG_NSC_INS5_IJiiEEESJ_Lb0EEESK_SK_SG_NS_23Merge_v2_magic_divisionINS5_IJiiiiEEEEESN_NS_8RightPadIiiLb0EEESP_NS_7UnMergeISJ_Lb0EEESG_EEENS5_IJNS_8SequenceIJLi0EEEENST_IJLi1EEEENST_IJLi2EEEENST_IJLi3EEEENST_IJLi4EEEENST_IJLi5EEEENST_IJLi6EEEENST_IJLi7EEEENST_IJLi8EEEENST_IJLi9EEEENST_IJLi10EEEENST_IJLi11ELi13ELi15ELi17EEEENST_IJLi12ELi14ELi16ELi18EEEENST_IJLi19EEEENST_IJLi20EEEENST_IJLi22EEEENST_IJLi21EEEEEEENS5_IJNST_IJLi1ELi2ELi3ELi4ELi5EEEES10_S11_S12_S13_S14_NST_IJLi11EEEENST_IJLi12ELi13EEEENST_IJLi14ELi15EEEENST_IJLi16ELi17EEEENST_IJLi18EEEES17_S18_S1A_S19_NST_IJLi23ELi24EEEENST_IJLi25EEEEEEENST_IJLi23ELi25ELi24EEEElEENSB_INS5_IJSR_SP_SP_SR_SG_EEENS5_IJSU_SV_SW_SY_SX_EEENS5_IJNST_IJLi1ELi2EEEESX_SY_NST_IJLi5ELi6EEEES11_EEENST_IJLi5ELi7ELi6EEEElEENSB_INS5_IJSK_SP_SP_EEENS5_IJSU_SV_SW_EEENS5_IJS1P_SX_SY_EEENST_IJLi3ELi4EEEElEELi128ELi128ELi16ELi4ELi4ELi4ELi1ENST_IJLi8ELi2EEEES1Z_NST_IJLi8ELi1ELi1ELi4EEEENST_IJLi2ELi1ELi128ELi1EEEENST_IJLi1ELi2ELi0ELi3EEEES22_NST_IJLi4ELi1ELi1ELi4EEEES22_NST_IJLi1ELi1ELi1ELi4EEEES20_S21_S22_S22_S23_S22_S24_NST_IJLi0ELi1ELi2ELi3ELi4ELi5EEEELi5ELi4EEEaNS5_IJPKaEEEaS8_S8_S9_NSB_INS5_IJSE_SG_SI_SI_SI_SG_SG_SK_SK_SK_SG_SN_SN_SP_SP_SR_SG_SG_NSQ_INS5_IJiNS_17integral_constantIiLi128EEEEEELb0EEENSF_INS2A_IiLi4EEEEEEEENS5_IJSU_SV_SW_SX_SY_SZ_S10_S11_S12_S13_S14_S15_S16_S17_S18_S19_S1A_NST_IJLi23EEEES1J_NST_IJLi24EEEEEEENS5_IJS1C_S10_S11_S12_S13_S14_S1D_S1E_S1F_S1G_S1H_S17_S18_S1A_S19_S1I_S1J_NST_IJLi26EEEENST_IJLi27ELi28EEEENST_IJLi29EEEEEEENST_IJLi26ELi27ELi28ELi29EEEElEENSB_INS5_IJSR_SP_SP_SR_SG_SG_S2D_S2F_EEENS5_IJSU_SV_SW_SY_SX_SZ_S11_S10_EEENS5_IJS1P_SX_SY_S1Q_S11_S12_NST_IJLi9ELi10EEEES1D_EEENST_IJLi8ELi9ELi10ELi11EEEElEENS5_IJNSB_INS5_IJSK_SP_SP_NSQ_INS5_IJiNS2A_IiLi2EEENS2A_IiLi64EEEEEELb0EEES2Z_EEENS5_IJSU_SV_SW_SX_SY_EEENS5_IJS1P_SX_SY_NST_IJLi5ELi6ELi7EEEENST_IJLi8ELi9ELi10EEEEEEENST_IJLi5ELi6ELi7ELi8ELi9ELi10EEEElEEEEES36_NS_31BlockToCTileMap_M00_N00_M01_N01ILi128ELi128ES1Y_Lb0EEENS1_30ComputePtrOffsetOfStridedBatchILi1ELi1ELi1EvEELb0ELb1EEEvPKT0_S3E_T1_PT2_T3_T4_T5_iT6_T7_T8_T9_T10_T11_: ; @_ZN2ck16tensor_operation6device12_GLOBAL__N_137kernel_grouped_conv_fwd_dl_multiple_dINS_32GridwiseGemmDlMultipleD_km_kn_mnILi256EaiNS_5TupleIJaEEEaNS0_12element_wise11PassThroughES8_NS7_7AddReluELNS_25InMemoryDataOperationEnumE0ENS_16TensorDescriptorINS5_IJNS_5EmbedINS5_IJiiiiiEEESD_Lb0EEENS_11PassThroughIiEENS_3PadIiiiLb0EEESI_SI_SG_SG_NSC_INS5_IJiiEEESJ_Lb0EEESK_SK_SG_NS_23Merge_v2_magic_divisionINS5_IJiiiiEEEEESN_NS_8RightPadIiiLb0EEESP_NS_7UnMergeISJ_Lb0EEESG_EEENS5_IJNS_8SequenceIJLi0EEEENST_IJLi1EEEENST_IJLi2EEEENST_IJLi3EEEENST_IJLi4EEEENST_IJLi5EEEENST_IJLi6EEEENST_IJLi7EEEENST_IJLi8EEEENST_IJLi9EEEENST_IJLi10EEEENST_IJLi11ELi13ELi15ELi17EEEENST_IJLi12ELi14ELi16ELi18EEEENST_IJLi19EEEENST_IJLi20EEEENST_IJLi22EEEENST_IJLi21EEEEEEENS5_IJNST_IJLi1ELi2ELi3ELi4ELi5EEEES10_S11_S12_S13_S14_NST_IJLi11EEEENST_IJLi12ELi13EEEENST_IJLi14ELi15EEEENST_IJLi16ELi17EEEENST_IJLi18EEEES17_S18_S1A_S19_NST_IJLi23ELi24EEEENST_IJLi25EEEEEEENST_IJLi23ELi25ELi24EEEElEENSB_INS5_IJSR_SP_SP_SR_SG_EEENS5_IJSU_SV_SW_SY_SX_EEENS5_IJNST_IJLi1ELi2EEEESX_SY_NST_IJLi5ELi6EEEES11_EEENST_IJLi5ELi7ELi6EEEElEENSB_INS5_IJSK_SP_SP_EEENS5_IJSU_SV_SW_EEENS5_IJS1P_SX_SY_EEENST_IJLi3ELi4EEEElEELi128ELi128ELi16ELi4ELi4ELi4ELi1ENST_IJLi8ELi2EEEES1Z_NST_IJLi8ELi1ELi1ELi4EEEENST_IJLi2ELi1ELi128ELi1EEEENST_IJLi1ELi2ELi0ELi3EEEES22_NST_IJLi4ELi1ELi1ELi4EEEES22_NST_IJLi1ELi1ELi1ELi4EEEES20_S21_S22_S22_S23_S22_S24_NST_IJLi0ELi1ELi2ELi3ELi4ELi5EEEELi5ELi4EEEaNS5_IJPKaEEEaS8_S8_S9_NSB_INS5_IJSE_SG_SI_SI_SI_SG_SG_SK_SK_SK_SG_SN_SN_SP_SP_SR_SG_SG_NSQ_INS5_IJiNS_17integral_constantIiLi128EEEEEELb0EEENSF_INS2A_IiLi4EEEEEEEENS5_IJSU_SV_SW_SX_SY_SZ_S10_S11_S12_S13_S14_S15_S16_S17_S18_S19_S1A_NST_IJLi23EEEES1J_NST_IJLi24EEEEEEENS5_IJS1C_S10_S11_S12_S13_S14_S1D_S1E_S1F_S1G_S1H_S17_S18_S1A_S19_S1I_S1J_NST_IJLi26EEEENST_IJLi27ELi28EEEENST_IJLi29EEEEEEENST_IJLi26ELi27ELi28ELi29EEEElEENSB_INS5_IJSR_SP_SP_SR_SG_SG_S2D_S2F_EEENS5_IJSU_SV_SW_SY_SX_SZ_S11_S10_EEENS5_IJS1P_SX_SY_S1Q_S11_S12_NST_IJLi9ELi10EEEES1D_EEENST_IJLi8ELi9ELi10ELi11EEEElEENS5_IJNSB_INS5_IJSK_SP_SP_NSQ_INS5_IJiNS2A_IiLi2EEENS2A_IiLi64EEEEEELb0EEES2Z_EEENS5_IJSU_SV_SW_SX_SY_EEENS5_IJS1P_SX_SY_NST_IJLi5ELi6ELi7EEEENST_IJLi8ELi9ELi10EEEEEEENST_IJLi5ELi6ELi7ELi8ELi9ELi10EEEElEEEEES36_NS_31BlockToCTileMap_M00_N00_M01_N01ILi128ELi128ES1Y_Lb0EEENS1_30ComputePtrOffsetOfStridedBatchILi1ELi1ELi1EvEELb0ELb1EEEvPKT0_S3E_T1_PT2_T3_T4_T5_iT6_T7_T8_T9_T10_T11_
; %bb.0:
	s_clause 0x2
	s_load_b32 s2, s[0:1], 0x24
	s_load_b128 s[36:39], s[0:1], 0x3c
	s_load_b32 s47, s[0:1], 0x4c
	v_lshrrev_b32_e32 v25, 1, v0
	s_mov_b32 s27, 0x31004000
	v_lshlrev_b32_e32 v41, 1, v0
	s_clause 0x1
	s_load_b128 s[40:43], s[0:1], 0x2c0
	s_load_b32 s71, s[0:1], 0x28c
	s_delay_alu instid0(VALU_DEP_1) | instskip(SKIP_2) | instid1(SALU_CYCLE_1)
	v_and_b32_e32 v44, 0x1f8, v41
	s_wait_kmcnt 0x0
	s_abs_i32 s3, s2
	s_cvt_f32_u32 s4, s3
	s_sub_co_i32 s6, 0, s3
	s_delay_alu instid0(SALU_CYCLE_2)
	v_rcp_iflag_f32_e32 v1, s4
	s_clause 0x9
	s_load_b32 s4, s[0:1], 0x300
	s_load_b256 s[8:15], s[0:1], 0x0
	s_load_b32 s51, s[0:1], 0x58
	s_load_b96 s[44:46], s[0:1], 0x54
	s_load_b32 s55, s[0:1], 0x64
	s_load_b96 s[48:50], s[0:1], 0x60
	s_load_b96 s[28:30], s[0:1], 0x10c
	s_load_b32 s59, s[0:1], 0x120
	s_load_b32 s63, s[0:1], 0x12c
	;; [unrolled: 1-line block ×3, first 2 shown]
	v_readfirstlane_b32 s5, v1
	s_mul_f32 s5, s5, 0x4f7ffffe
	s_wait_alu 0xfffe
	s_delay_alu instid0(SALU_CYCLE_2)
	s_cvt_u32_f32 s5, s5
	s_wait_kmcnt 0x0
	s_abs_i32 s7, s4
	s_xor_b32 s2, s4, s2
	s_wait_alu 0xfffe
	s_mul_i32 s6, s6, s5
	s_ashr_i32 s2, s2, 31
	s_mul_hi_u32 s6, s5, s6
	s_delay_alu instid0(SALU_CYCLE_1)
	s_add_co_i32 s5, s5, s6
	s_wait_alu 0xfffe
	s_mul_hi_u32 s5, s7, s5
	s_wait_alu 0xfffe
	s_mul_i32 s4, s5, s3
	s_add_co_i32 s6, s5, 1
	s_wait_alu 0xfffe
	s_sub_co_i32 s4, s7, s4
	s_wait_alu 0xfffe
	s_sub_co_i32 s7, s4, s3
	s_cmp_ge_u32 s4, s3
	s_cselect_b32 s5, s6, s5
	s_cselect_b32 s4, s7, s4
	s_wait_alu 0xfffe
	s_add_co_i32 s6, s5, 1
	s_cmp_ge_u32 s4, s3
	s_cselect_b32 s3, s6, s5
	s_abs_i32 s24, ttmp9
	s_xor_b32 s3, s3, s2
	s_delay_alu instid0(SALU_CYCLE_1) | instskip(NEXT) | instid1(SALU_CYCLE_1)
	s_sub_co_i32 s17, s3, s2
	s_abs_i32 s16, s17
	s_xor_b32 s17, ttmp9, s17
	s_cvt_f32_u32 s2, s16
	s_sub_co_i32 s19, 0, s16
	s_ashr_i32 s25, s17, 31
	s_delay_alu instid0(SALU_CYCLE_1)
	v_rcp_iflag_f32_e32 v1, s2
	s_clause 0x7
	s_load_b32 s49, s[0:1], 0x70
	s_load_b64 s[78:79], s[0:1], 0x88
	s_load_b64 s[2:3], s[0:1], 0x98
	s_load_b96 s[52:54], s[0:1], 0x6c
	s_load_b64 s[80:81], s[0:1], 0xa8
	s_load_b96 s[64:66], s[0:1], 0xb8
	s_load_b96 s[56:58], s[0:1], 0xec
	;; [unrolled: 1-line block ×3, first 2 shown]
	v_readfirstlane_b32 s4, v1
	v_lshlrev_b32_e32 v1, 3, v0
	s_mul_f32 s4, s4, 0x4f7ffffe
	s_delay_alu instid0(VALU_DEP_1) | instskip(SKIP_1) | instid1(SALU_CYCLE_1)
	v_and_b32_e32 v22, 8, v1
	s_wait_alu 0xfffe
	s_cvt_u32_f32 s18, s4
	s_clause 0x1
	s_load_b128 s[4:7], s[0:1], 0x298
	s_load_b128 s[20:23], s[0:1], 0x2ac
	v_or_b32_e32 v1, 4, v22
	v_mul_lo_u32 v23, s34, v22
	s_mul_i32 s19, s19, s18
	s_clause 0x1
	s_load_b96 s[72:74], s[0:1], 0xc8
	s_load_b96 s[68:70], s[0:1], 0xd8
	s_mul_hi_u32 s19, s18, s19
	v_mul_lo_u32 v24, s34, v1
	s_add_co_i32 s18, s18, s19
	v_or_b32_e32 v37, 20, v22
	s_mul_hi_u32 s18, s24, s18
	s_wait_kmcnt 0x0
	v_mul_hi_u32 v1, v23, s62
	s_mul_i32 s19, s18, s16
	s_delay_alu instid0(SALU_CYCLE_1)
	s_sub_co_i32 s17, s24, s19
	s_add_co_i32 s19, s18, 1
	s_sub_co_i32 s24, s17, s16
	s_cmp_ge_u32 s17, s16
	v_mul_hi_u32 v2, v24, s62
	s_cselect_b32 s18, s19, s18
	s_cselect_b32 s17, s24, s17
	s_add_co_i32 s19, s18, 1
	s_cmp_ge_u32 s17, s16
	s_mul_hi_u32 s16, s23, ttmp9
	s_cselect_b32 s24, s19, s18
	s_add_co_i32 s16, ttmp9, s16
	v_add_nc_u32_e32 v1, v23, v1
	s_lshr_b32 s35, s16, s43
	s_load_b32 s16, s[0:1], 0x27c
	s_mul_hi_u32 s17, s35, s22
	v_add_nc_u32_e32 v2, v24, v2
	s_add_co_i32 s17, s35, s17
	v_lshrrev_b32_e32 v1, s30, v1
	s_lshr_b32 s45, s17, s42
	s_mov_b32 s43, s27
	s_mul_hi_u32 s17, s45, s21
	v_lshrrev_b32_e32 v2, s30, v2
	s_add_co_i32 s17, s45, s17
	v_mul_hi_u32 v3, v1, s61
	s_lshr_b32 s41, s17, s41
	v_mul_lo_u32 v6, v1, s58
	s_mul_hi_u32 s17, s41, s20
	v_mul_hi_u32 v4, v2, s61
	s_add_co_i32 s17, s41, s17
	v_mul_lo_u32 v7, v2, s58
	s_lshr_b32 s17, s17, s40
	v_add_nc_u32_e32 v3, v1, v3
	s_mul_i32 s17, s17, s4
	s_mul_i32 s4, s45, s6
	s_sub_co_i32 s6, s41, s17
	s_wait_alu 0xfffe
	s_sub_co_i32 s4, s35, s4
	s_wait_kmcnt 0x0
	s_mul_i32 s6, s6, s16
	v_add_nc_u32_e32 v4, v2, v4
	s_wait_alu 0xfffe
	s_add_co_i32 s6, s4, s6
	v_lshrrev_b32_e32 v3, s29, v3
	s_lshl_b32 s31, s6, 7
	v_sub_nc_u32_e32 v27, v24, v7
	s_wait_alu 0xfffe
	v_or_b32_e32 v26, s31, v25
	v_lshrrev_b32_e32 v4, s29, v4
	v_mul_hi_u32 v8, v3, s60
	v_mul_lo_u32 v9, v3, s57
	v_sub_nc_u32_e32 v6, v23, v6
	v_mul_hi_u32 v5, v26, s74
	v_mul_hi_u32 v10, v4, s60
	v_mul_lo_u32 v11, v4, s57
	s_clause 0x8
	s_load_b32 s26, s[0:1], 0x160
	s_load_b32 s40, s[0:1], 0x170
	;; [unrolled: 1-line block ×6, first 2 shown]
	s_load_b64 s[76:77], s[0:1], 0x1d0
	s_load_b32 s33, s[0:1], 0x1dc
	s_load_b256 s[16:23], s[0:1], 0x2d8
	v_add_nc_u32_e32 v7, v3, v8
	v_sub_nc_u32_e32 v1, v1, v9
	s_xor_b32 s6, s24, s25
	v_add_nc_u32_e32 v5, v26, v5
	v_add_nc_u32_e32 v8, v4, v10
	v_sub_nc_u32_e32 v28, v2, v11
	v_lshrrev_b32_e32 v2, s28, v7
	s_mul_i32 s41, s41, s5
	v_lshrrev_b32_e32 v5, s70, v5
	v_lshrrev_b32_e32 v29, s28, v8
	v_mul_lo_u32 v8, v6, s47
	v_sub_nc_u32_e32 v6, v27, v6
	v_sub_nc_u32_e32 v9, v28, v1
	v_mul_hi_u32 v7, v5, s73
	v_mul_lo_u32 v11, v29, s56
	v_mul_lo_u32 v10, v2, s56
	v_sub_nc_u32_e32 v12, v29, v2
	v_mul_lo_u32 v30, v9, s80
	v_mul_lo_u32 v9, v6, s47
	;; [unrolled: 1-line block ×4, first 2 shown]
	v_add_nc_u32_e32 v7, v5, v7
	v_sub_nc_u32_e32 v32, v4, v11
	v_mul_lo_u32 v31, v12, s78
	v_mul_lo_u32 v12, v5, s66
	s_sub_co_i32 s70, s6, s25
	v_lshrrev_b32_e32 v6, s69, v7
	v_sub_nc_u32_e32 v7, v3, v10
	s_mul_i32 s35, s35, s7
	s_sub_co_i32 s6, s45, s41
	s_wait_alu 0xfffe
	s_sub_co_i32 s5, ttmp9, s35
	v_mul_hi_u32 v4, v6, s72
	v_mul_lo_u32 v13, v6, s65
	v_mul_lo_u32 v3, v7, s2
	s_mul_i32 s6, s6, s71
	s_wait_kmcnt 0x0
	v_mul_lo_u32 v17, s4, v22
	s_wait_alu 0xfffe
	s_add_co_i32 s5, s5, s6
	s_ashr_i32 s71, s70, 31
	s_wait_alu 0xfffe
	s_lshl_b32 s45, s5, 7
	v_add_nc_u32_e32 v4, v6, v4
	v_sub_nc_u32_e32 v5, v5, v13
	v_or_b32_e32 v33, s45, v25
	s_mul_u64 s[6:7], s[18:19], s[70:71]
	v_sub_nc_u32_e32 v7, v32, v7
	v_lshrrev_b32_e32 v14, s68, v4
	v_sub_nc_u32_e32 v4, v26, v12
	v_mul_lo_u32 v10, v30, s39
	v_mul_lo_u32 v11, v31, s37
	;; [unrolled: 1-line block ×4, first 2 shown]
	v_mad_co_u64_u32 v[18:19], null, v4, s81, v[1:2]
	v_mad_co_u64_u32 v[19:20], null, v5, s3, v[3:4]
	v_mul_lo_u32 v13, v14, s36
	v_add3_u32 v9, v10, v9, v11
	v_mul_lo_u32 v15, v34, s38
	v_sub_nc_u32_e32 v1, v6, v12
	v_mad_co_u64_u32 v[5:6], null, v33, s40, v[17:18]
	s_add_nc_u64 s[40:41], s[10:11], s[6:7]
	s_lshl_b32 s10, s4, 2
	v_mad_co_u64_u32 v[20:21], null, v1, s79, v[2:3]
	v_subrev_nc_u32_e32 v1, s49, v18
	v_subrev_nc_u32_e32 v2, s55, v19
	s_wait_alu 0xfffe
	s_and_b32 s41, s41, 0xffff
	v_add_nc_u32_e32 v35, s10, v5
	s_mul_u64 s[6:7], s[16:17], s[70:71]
	v_mul_lo_u32 v6, v1, s39
	v_mul_lo_u32 v7, v2, s38
	buffer_load_b128 v[1:4], v5, s[40:43], null offen
	v_subrev_nc_u32_e32 v12, s51, v20
	s_add_nc_u64 s[24:25], s[8:9], s[6:7]
	v_or_b32_e32 v21, 16, v22
	s_and_b32 s25, s25, 0xffff
	v_mul_lo_u32 v37, s34, v37
	v_mul_lo_u32 v12, v12, s37
	v_add3_u32 v14, v6, v8, v7
	buffer_load_b128 v[5:8], v35, s[40:43], null offen
	v_mul_lo_u32 v38, s34, v21
	v_lshlrev_b32_e32 v25, 2, v25
	s_mul_i32 s9, s4, 12
	v_cmp_gt_i32_e64 s3, s63, v23
	v_mul_hi_u32 v39, v37, s62
	v_add3_u32 v10, v14, v13, v12
	v_lshl_or_b32 v92, v22, 9, v25
	v_cmp_gt_i32_e64 s4, s63, v24
	v_mul_hi_u32 v21, v38, s62
	v_cmp_gt_i32_e64 s5, s67, v17
	v_add3_u32 v36, v9, v15, v10
	s_clause 0x1
	buffer_load_b128 v[9:12], v10, s[24:27], null offen
	buffer_load_b128 v[13:16], v36, s[24:27], null offen
	v_add_nc_u32_e32 v39, v37, v39
	v_add_nc_u32_e32 v21, v38, v21
	;; [unrolled: 1-line block ×4, first 2 shown]
	v_cmp_gt_i32_e64 s6, s63, v38
	v_lshrrev_b32_e32 v39, s30, v39
	v_lshrrev_b32_e32 v40, s30, v21
	;; [unrolled: 1-line block ×3, first 2 shown]
	v_lshlrev_b32_e32 v0, 2, v0
	v_cmp_gt_i32_e64 s8, s67, v17
	v_mul_hi_u32 v45, v39, s61
	v_mul_hi_u32 v42, v40, s61
	v_lshlrev_b32_e32 v43, 6, v21
	v_lshlrev_b32_e32 v21, 3, v21
	s_clause 0x5
	s_load_b32 s36, s[0:1], 0x1e8
	s_load_b32 s30, s[0:1], 0x210
	s_load_b64 s[34:35], s[0:1], 0x220
	s_load_b32 s11, s[0:1], 0x22c
	s_load_b32 s19, s[0:1], 0x238
	s_load_b32 s18, s[0:1], 0x260
	s_mul_u64 s[0:1], s[20:21], s[70:71]
	v_cmp_gt_i32_e64 s7, s63, v37
	v_sub_nc_u32_e32 v43, v44, v43
	v_and_or_b32 v91, v41, 4, v21
	v_add_nc_u32_e32 v42, v40, v42
	v_add_nc_u32_e32 v21, v39, v45
	s_mul_u64 s[16:17], s[22:23], s[70:71]
	v_and_or_b32 v90, v0, 4, v43
	v_mul_lo_u32 v0, v40, s58
	v_lshrrev_b32_e32 v42, s29, v42
	v_lshrrev_b32_e32 v25, s29, v21
	s_add_nc_u64 s[16:17], s[14:15], s[16:17]
	v_lshlrev_b32_e32 v89, 2, v90
	v_lshlrev_b32_e32 v88, 2, v91
	v_mul_hi_u32 v22, v42, s60
	v_mul_lo_u32 v41, v42, s57
	v_sub_nc_u32_e32 v0, v38, v0
	v_mul_hi_u32 v43, v25, s60
	s_and_b32 s17, s17, 0xffff
	s_delay_alu instid0(VALU_DEP_2) | instskip(SKIP_1) | instid1(VALU_DEP_2)
	v_sub_nc_u32_e32 v27, v0, v27
	v_add_nc_u32_e32 v21, v42, v22
	v_mul_lo_u32 v27, v27, s47
	s_delay_alu instid0(VALU_DEP_2) | instskip(NEXT) | instid1(VALU_DEP_1)
	v_lshrrev_b32_e32 v44, s28, v21
	v_sub_nc_u32_e32 v29, v44, v29
	s_wait_loadcnt 0x3
	v_mad_co_u64_u32 v[21:22], null, v39, s58, v[0:1]
	v_sub_nc_u32_e32 v22, v40, v41
	v_add_nc_u32_e32 v40, v25, v43
	v_mul_lo_u32 v41, v44, s56
	s_delay_alu instid0(VALU_DEP_3) | instskip(NEXT) | instid1(VALU_DEP_3)
	v_mad_co_u64_u32 v[23:24], null, v25, s57, v[22:23]
	v_lshrrev_b32_e32 v24, s28, v40
	v_sub_nc_u32_e32 v22, v22, v28
	v_sub_nc_u32_e32 v28, v37, v21
	;; [unrolled: 1-line block ×3, first 2 shown]
	s_add_nc_u64 s[28:29], s[12:13], s[0:1]
	v_sub_nc_u32_e32 v41, v24, v44
	v_sub_nc_u32_e32 v23, v39, v23
	v_mul_lo_u32 v40, v22, s80
	v_mad_co_u64_u32 v[21:22], null, v24, s56, v[0:1]
	v_mul_lo_u32 v22, v29, s78
	v_mul_lo_u32 v24, v41, s78
	;; [unrolled: 1-line block ×4, first 2 shown]
	v_sub_nc_u32_e32 v0, v0, v32
	v_mul_lo_u32 v29, v40, s39
	v_sub_nc_u32_e32 v21, v25, v21
	v_cmp_gt_i32_e64 s0, s53, v33
	v_mul_lo_u32 v25, v22, s37
	v_mul_lo_u32 v32, v24, s37
	;; [unrolled: 1-line block ×3, first 2 shown]
	s_sub_co_i32 s37, s52, s54
	v_mul_lo_u32 v0, v0, s2
	v_mul_lo_u32 v21, v21, s2
	v_cmp_gt_i32_e64 s2, s59, v26
	s_sub_co_i32 s39, s44, s46
	v_add3_u32 v25, v29, v27, v25
	s_wait_alu 0xfffe
	s_and_b32 s29, s29, 0xffff
	v_add3_u32 v27, v39, v28, v32
	v_add_nc_u32_e32 v32, s9, v17
	v_mul_lo_u32 v28, v0, s38
	v_mul_lo_u32 v29, v21, s38
	s_sub_co_i32 s38, s48, s50
	s_delay_alu instid0(VALU_DEP_3) | instskip(SKIP_1) | instid1(VALU_DEP_2)
	v_add_nc_u32_e32 v17, s10, v32
	v_cmp_gt_i32_e64 s1, s67, v32
	v_cmp_gt_i32_e32 vcc_lo, s67, v17
	v_add_nc_u32_e32 v17, s9, v35
	v_cmp_gt_i32_e64 s9, s37, v18
	s_and_b32 s1, s1, s0
	s_and_b32 vcc_lo, vcc_lo, s0
	v_add_nc_u32_e32 v26, s10, v17
	v_cmp_le_i32_e64 s10, s49, v18
	v_add_nc_u32_e32 v18, v30, v40
	s_and_b32 s12, s9, s3
	v_cmp_gt_i32_e64 s3, s37, v30
	v_cmp_le_i32_e64 s9, s49, v30
	s_and_b32 s12, s12, s10
	v_cmp_gt_i32_e64 s10, s37, v18
	v_add_nc_u32_e32 v23, v18, v23
	s_and_b32 s4, s3, s4
	v_cmp_le_i32_e64 s3, s49, v18
	v_add_nc_u32_e32 v18, v19, v34
	s_wait_alu 0xfffe
	s_and_b32 s13, s4, s9
	s_and_b32 s9, s10, s6
	v_cmp_gt_i32_e64 s6, s37, v23
	s_wait_alu 0xfffe
	s_and_b32 s10, s9, s3
	v_cmp_le_i32_e64 s3, s55, v19
	v_cmp_gt_i32_e64 s9, s38, v19
	v_cmp_le_i32_e64 s4, s49, v23
	v_add_nc_u32_e32 v0, v18, v0
	s_and_b32 s14, s6, s7
	v_cmp_le_i32_e64 s6, s55, v18
	v_cmp_gt_i32_e64 s7, s38, v18
	s_and_b32 s3, s3, s9
	s_and_b32 s9, s14, s4
	s_wait_alu 0xfffe
	s_and_b32 s12, s12, s3
	v_add_nc_u32_e32 v18, v0, v21
	v_cmp_le_i32_e64 s3, s55, v0
	v_cmp_gt_i32_e64 s4, s38, v0
	v_add_nc_u32_e32 v0, v20, v31
	s_and_b32 s6, s6, s7
	v_cmp_gt_i32_e64 s7, s38, v18
	s_and_b32 s13, s13, s6
	v_cmp_le_i32_e64 s6, s55, v18
	s_and_b32 s14, s3, s4
	v_cmp_le_i32_e64 s3, s51, v20
	v_cmp_gt_i32_e64 s4, s39, v20
	v_add_nc_u32_e32 v18, v0, v22
	s_and_b32 s6, s6, s7
	s_and_b32 s14, s10, s14
	s_and_b32 s15, s9, s6
	s_and_b32 s20, s3, s4
	v_cmp_le_i32_e64 s3, s51, v0
	v_cmp_gt_i32_e64 s4, s39, v0
	v_cmp_le_i32_e64 s6, s51, v18
	v_cmp_gt_i32_e64 s7, s39, v18
	v_add3_u32 v0, v25, v28, v36
	s_and_b32 s12, s12, s20
	s_and_b32 s3, s3, s4
	v_add_nc_u32_e32 v19, v18, v24
	s_wait_alu 0xfffe
	s_and_b32 s13, s13, s3
	s_and_b32 s3, s6, s7
	v_add3_u32 v18, v27, v29, v0
	s_wait_alu 0xfffe
	s_and_b32 s4, s14, s3
	s_and_b32 s3, s5, s0
	v_cmp_le_i32_e64 s9, s51, v19
	s_wait_alu 0xfffe
	v_cndmask_b32_e64 v4, 0, v4, s3
	v_cndmask_b32_e64 v3, 0, v3, s3
	v_cndmask_b32_e64 v2, 0, v2, s3
	v_cndmask_b32_e64 v1, 0, v1, s3
	s_and_b32 s3, s8, s0
	ds_store_2addr_stride64_b32 v92, v1, v2 offset0:64 offset1:66
	ds_store_2addr_stride64_b32 v92, v3, v4 offset0:68 offset1:70
	s_wait_loadcnt 0x2
	s_wait_alu 0xfffe
	v_cndmask_b32_e64 v6, 0, v6, s3
	v_cndmask_b32_e64 v5, 0, v5, s3
	;; [unrolled: 1-line block ×4, first 2 shown]
	s_and_b32 s3, s2, s12
	v_cmp_gt_i32_e64 s10, s39, v19
	ds_store_2addr_stride64_b32 v92, v5, v6 offset0:72 offset1:74
	s_wait_loadcnt 0x1
	s_wait_alu 0xfffe
	v_cndmask_b32_e64 v2, 0, v12, s3
	v_cndmask_b32_e64 v3, 0, v11, s3
	;; [unrolled: 1-line block ×4, first 2 shown]
	s_and_b32 s3, s2, s13
	s_and_b32 s6, s9, s10
	s_wait_loadcnt 0x0
	s_wait_alu 0xfffe
	v_cndmask_b32_e64 v7, 0, v14, s3
	v_cndmask_b32_e64 v9, 0, v13, s3
	;; [unrolled: 1-line block ×4, first 2 shown]
	ds_store_2addr_stride64_b32 v92, v1, v8 offset0:76 offset1:78
	ds_store_2addr_stride64_b32 v92, v5, v4 offset1:2
	ds_store_2addr_stride64_b32 v92, v3, v2 offset0:4 offset1:6
	ds_store_2addr_stride64_b32 v92, v9, v7 offset0:8 offset1:10
	;; [unrolled: 1-line block ×3, first 2 shown]
	s_wait_dscnt 0x0
	s_barrier_signal -1
	s_barrier_wait -1
	s_clause 0x1
	buffer_load_b128 v[8:11], v0, s[24:27], null offen
	buffer_load_b128 v[12:15], v18, s[24:27], null offen
	s_clause 0x1
	buffer_load_b128 v[4:7], v17, s[40:43], null offen
	buffer_load_b128 v[0:3], v26, s[40:43], null offen
	ds_load_b128 v[93:96], v89 offset:16384
	ds_load_b128 v[97:100], v89 offset:16640
	ds_load_b128 v[101:104], v88
	ds_load_b128 v[105:108], v88 offset:256
	ds_load_b128 v[16:19], v89 offset:16896
	;; [unrolled: 1-line block ×25, first 2 shown]
	s_wait_dscnt 0x19
	v_dot4_i32_iu8 v133, v101, v93, 0 neg_lo:[1,1,0]
	v_dot4_i32_iu8 v134, v101, v94, 0 neg_lo:[1,1,0]
	v_dot4_i32_iu8 v135, v101, v95, 0 neg_lo:[1,1,0]
	v_dot4_i32_iu8 v136, v101, v96, 0 neg_lo:[1,1,0]
	v_dot4_i32_iu8 v137, v102, v93, 0 neg_lo:[1,1,0]
	v_dot4_i32_iu8 v138, v102, v94, 0 neg_lo:[1,1,0]
	v_dot4_i32_iu8 v139, v102, v95, 0 neg_lo:[1,1,0]
	v_dot4_i32_iu8 v140, v102, v96, 0 neg_lo:[1,1,0]
	v_dot4_i32_iu8 v141, v103, v93, 0 neg_lo:[1,1,0]
	v_dot4_i32_iu8 v142, v103, v94, 0 neg_lo:[1,1,0]
	v_dot4_i32_iu8 v143, v103, v95, 0 neg_lo:[1,1,0]
	v_dot4_i32_iu8 v144, v103, v96, 0 neg_lo:[1,1,0]
	v_dot4_i32_iu8 v145, v104, v93, 0 neg_lo:[1,1,0]
	v_dot4_i32_iu8 v146, v104, v94, 0 neg_lo:[1,1,0]
	v_dot4_i32_iu8 v147, v104, v95, 0 neg_lo:[1,1,0]
	v_dot4_i32_iu8 v148, v104, v96, 0 neg_lo:[1,1,0]
	v_dot4_i32_iu8 v149, v101, v97, 0 neg_lo:[1,1,0]
	v_dot4_i32_iu8 v150, v101, v98, 0 neg_lo:[1,1,0]
	v_dot4_i32_iu8 v151, v101, v99, 0 neg_lo:[1,1,0]
	v_dot4_i32_iu8 v101, v101, v100, 0 neg_lo:[1,1,0]
	v_dot4_i32_iu8 v152, v102, v97, 0 neg_lo:[1,1,0]
	v_dot4_i32_iu8 v153, v102, v98, 0 neg_lo:[1,1,0]
	v_dot4_i32_iu8 v154, v102, v99, 0 neg_lo:[1,1,0]
	v_dot4_i32_iu8 v102, v102, v100, 0 neg_lo:[1,1,0]
	v_dot4_i32_iu8 v155, v103, v97, 0 neg_lo:[1,1,0]
	v_dot4_i32_iu8 v156, v103, v98, 0 neg_lo:[1,1,0]
	v_dot4_i32_iu8 v157, v103, v99, 0 neg_lo:[1,1,0]
	v_dot4_i32_iu8 v103, v103, v100, 0 neg_lo:[1,1,0]
	v_dot4_i32_iu8 v158, v104, v97, 0 neg_lo:[1,1,0]
	v_dot4_i32_iu8 v159, v104, v98, 0 neg_lo:[1,1,0]
	v_dot4_i32_iu8 v160, v104, v99, 0 neg_lo:[1,1,0]
	v_dot4_i32_iu8 v104, v104, v100, 0 neg_lo:[1,1,0]
	s_wait_dscnt 0x18
	v_dot4_i32_iu8 v161, v105, v93, 0 neg_lo:[1,1,0]
	v_dot4_i32_iu8 v162, v105, v94, 0 neg_lo:[1,1,0]
	v_dot4_i32_iu8 v163, v105, v95, 0 neg_lo:[1,1,0]
	v_dot4_i32_iu8 v164, v105, v96, 0 neg_lo:[1,1,0]
	v_dot4_i32_iu8 v165, v106, v93, 0 neg_lo:[1,1,0]
	v_dot4_i32_iu8 v166, v106, v94, 0 neg_lo:[1,1,0]
	v_dot4_i32_iu8 v167, v106, v95, 0 neg_lo:[1,1,0]
	v_dot4_i32_iu8 v168, v106, v96, 0 neg_lo:[1,1,0]
	v_dot4_i32_iu8 v169, v107, v93, 0 neg_lo:[1,1,0]
	v_dot4_i32_iu8 v170, v107, v94, 0 neg_lo:[1,1,0]
	v_dot4_i32_iu8 v171, v107, v95, 0 neg_lo:[1,1,0]
	v_dot4_i32_iu8 v172, v107, v96, 0 neg_lo:[1,1,0]
	v_dot4_i32_iu8 v173, v108, v93, 0 neg_lo:[1,1,0]
	v_dot4_i32_iu8 v174, v108, v94, 0 neg_lo:[1,1,0]
	v_dot4_i32_iu8 v175, v108, v95, 0 neg_lo:[1,1,0]
	v_dot4_i32_iu8 v176, v108, v96, 0 neg_lo:[1,1,0]
	v_dot4_i32_iu8 v177, v105, v97, 0 neg_lo:[1,1,0]
	v_dot4_i32_iu8 v178, v105, v98, 0 neg_lo:[1,1,0]
	v_dot4_i32_iu8 v179, v105, v99, 0 neg_lo:[1,1,0]
	v_dot4_i32_iu8 v105, v105, v100, 0 neg_lo:[1,1,0]
	v_dot4_i32_iu8 v180, v106, v97, 0 neg_lo:[1,1,0]
	v_dot4_i32_iu8 v181, v106, v98, 0 neg_lo:[1,1,0]
	v_dot4_i32_iu8 v182, v106, v99, 0 neg_lo:[1,1,0]
	v_dot4_i32_iu8 v106, v106, v100, 0 neg_lo:[1,1,0]
	v_dot4_i32_iu8 v183, v107, v97, 0 neg_lo:[1,1,0]
	v_dot4_i32_iu8 v184, v107, v98, 0 neg_lo:[1,1,0]
	v_dot4_i32_iu8 v185, v107, v99, 0 neg_lo:[1,1,0]
	v_dot4_i32_iu8 v107, v107, v100, 0 neg_lo:[1,1,0]
	v_dot4_i32_iu8 v186, v108, v97, 0 neg_lo:[1,1,0]
	v_dot4_i32_iu8 v187, v108, v98, 0 neg_lo:[1,1,0]
	v_dot4_i32_iu8 v188, v108, v99, 0 neg_lo:[1,1,0]
	v_dot4_i32_iu8 v108, v108, v100, 0 neg_lo:[1,1,0]
	;; [unrolled: 33-line block ×6, first 2 shown]
	ds_load_b128 v[93:96], v89 offset:19968
	ds_load_b128 v[97:100], v89 offset:20224
	;; [unrolled: 1-line block ×4, first 2 shown]
	s_wait_dscnt 0x11
	v_dot4_i32_iu8 v35, v117, v40, v108 neg_lo:[1,1,0]
	v_dot4_i32_iu8 v38, v117, v41, v133 neg_lo:[1,1,0]
	v_dot4_i32_iu8 v39, v117, v42, v134 neg_lo:[1,1,0]
	v_dot4_i32_iu8 v107, v117, v43, v135 neg_lo:[1,1,0]
	v_dot4_i32_iu8 v108, v118, v40, v136 neg_lo:[1,1,0]
	v_dot4_i32_iu8 v133, v118, v41, v137 neg_lo:[1,1,0]
	v_dot4_i32_iu8 v134, v118, v42, v138 neg_lo:[1,1,0]
	v_dot4_i32_iu8 v135, v118, v43, v139 neg_lo:[1,1,0]
	v_dot4_i32_iu8 v136, v119, v40, v140 neg_lo:[1,1,0]
	v_dot4_i32_iu8 v137, v119, v41, v141 neg_lo:[1,1,0]
	v_dot4_i32_iu8 v138, v119, v42, v142 neg_lo:[1,1,0]
	v_dot4_i32_iu8 v139, v119, v43, v143 neg_lo:[1,1,0]
	v_dot4_i32_iu8 v140, v120, v40, v144 neg_lo:[1,1,0]
	v_dot4_i32_iu8 v141, v120, v41, v145 neg_lo:[1,1,0]
	v_dot4_i32_iu8 v142, v120, v42, v146 neg_lo:[1,1,0]
	v_dot4_i32_iu8 v143, v120, v43, v147 neg_lo:[1,1,0]
	v_dot4_i32_iu8 v144, v117, v44, v148 neg_lo:[1,1,0]
	v_dot4_i32_iu8 v145, v117, v45, v149 neg_lo:[1,1,0]
	v_dot4_i32_iu8 v146, v117, v46, v150 neg_lo:[1,1,0]
	v_dot4_i32_iu8 v101, v117, v47, v101 neg_lo:[1,1,0]
	v_dot4_i32_iu8 v109, v118, v44, v109 neg_lo:[1,1,0]
	v_dot4_i32_iu8 v113, v118, v45, v113 neg_lo:[1,1,0]
	v_dot4_i32_iu8 v117, v118, v46, v151 neg_lo:[1,1,0]
	v_dot4_i32_iu8 v102, v118, v47, v102 neg_lo:[1,1,0]
	v_dot4_i32_iu8 v110, v119, v44, v110 neg_lo:[1,1,0]
	v_dot4_i32_iu8 v114, v119, v45, v114 neg_lo:[1,1,0]
	v_dot4_i32_iu8 v118, v119, v46, v152 neg_lo:[1,1,0]
	v_dot4_i32_iu8 v103, v119, v47, v103 neg_lo:[1,1,0]
	v_dot4_i32_iu8 v111, v120, v44, v111 neg_lo:[1,1,0]
	v_dot4_i32_iu8 v115, v120, v45, v115 neg_lo:[1,1,0]
	v_dot4_i32_iu8 v119, v120, v46, v153 neg_lo:[1,1,0]
	v_dot4_i32_iu8 v104, v120, v47, v104 neg_lo:[1,1,0]
	s_wait_dscnt 0x10
	v_dot4_i32_iu8 v112, v48, v40, v112 neg_lo:[1,1,0]
	v_dot4_i32_iu8 v116, v48, v41, v116 neg_lo:[1,1,0]
	v_dot4_i32_iu8 v120, v48, v42, v154 neg_lo:[1,1,0]
	v_dot4_i32_iu8 v147, v48, v43, v155 neg_lo:[1,1,0]
	v_dot4_i32_iu8 v148, v49, v40, v156 neg_lo:[1,1,0]
	v_dot4_i32_iu8 v149, v49, v41, v157 neg_lo:[1,1,0]
	v_dot4_i32_iu8 v150, v49, v42, v158 neg_lo:[1,1,0]
	v_dot4_i32_iu8 v151, v49, v43, v159 neg_lo:[1,1,0]
	v_dot4_i32_iu8 v152, v50, v40, v160 neg_lo:[1,1,0]
	v_dot4_i32_iu8 v153, v50, v41, v161 neg_lo:[1,1,0]
	v_dot4_i32_iu8 v154, v50, v42, v162 neg_lo:[1,1,0]
	v_dot4_i32_iu8 v155, v50, v43, v163 neg_lo:[1,1,0]
	v_dot4_i32_iu8 v28, v51, v40, v28 neg_lo:[1,1,0]
	v_dot4_i32_iu8 v29, v51, v41, v29 neg_lo:[1,1,0]
	v_dot4_i32_iu8 v30, v51, v42, v30 neg_lo:[1,1,0]
	v_dot4_i32_iu8 v31, v51, v43, v31 neg_lo:[1,1,0]
	v_dot4_i32_iu8 v40, v48, v44, v164 neg_lo:[1,1,0]
	v_dot4_i32_iu8 v41, v48, v45, v165 neg_lo:[1,1,0]
	v_dot4_i32_iu8 v42, v48, v46, v166 neg_lo:[1,1,0]
	v_dot4_i32_iu8 v24, v48, v47, v24 neg_lo:[1,1,0]
	v_dot4_i32_iu8 v36, v49, v44, v36 neg_lo:[1,1,0]
	v_dot4_i32_iu8 v43, v49, v45, v105 neg_lo:[1,1,0]
	v_dot4_i32_iu8 v48, v49, v46, v167 neg_lo:[1,1,0]
	v_dot4_i32_iu8 v25, v49, v47, v25 neg_lo:[1,1,0]
	v_dot4_i32_iu8 v37, v50, v44, v37 neg_lo:[1,1,0]
	v_dot4_i32_iu8 v49, v50, v45, v106 neg_lo:[1,1,0]
	v_dot4_i32_iu8 v105, v50, v46, v168 neg_lo:[1,1,0]
	v_dot4_i32_iu8 v26, v50, v47, v26 neg_lo:[1,1,0]
	v_dot4_i32_iu8 v32, v51, v44, v32 neg_lo:[1,1,0]
	v_dot4_i32_iu8 v33, v51, v45, v33 neg_lo:[1,1,0]
	v_dot4_i32_iu8 v34, v51, v46, v34 neg_lo:[1,1,0]
	v_dot4_i32_iu8 v27, v51, v47, v27 neg_lo:[1,1,0]
	;; [unrolled: 33-line block ×9, first 2 shown]
	ds_load_b128 v[16:19], v88 offset:4096
	s_wait_dscnt 0x1
	v_dot4_i32_iu8 v80, v20, v93, v101 neg_lo:[1,1,0]
	v_dot4_i32_iu8 v81, v20, v94, v102 neg_lo:[1,1,0]
	;; [unrolled: 1-line block ×15, first 2 shown]
	ds_load_b128 v[24:27], v89 offset:20480
	v_dot4_i32_iu8 v96, v23, v96, v31 neg_lo:[1,1,0]
	v_dot4_i32_iu8 v40, v20, v97, v40 neg_lo:[1,1,0]
	;; [unrolled: 1-line block ×15, first 2 shown]
	ds_load_b128 v[28:31], v89 offset:20736
	v_dot4_i32_iu8 v99, v23, v99, v34 neg_lo:[1,1,0]
	v_dot4_i32_iu8 v79, v23, v100, v79 neg_lo:[1,1,0]
	ds_load_b128 v[20:23], v88 offset:4352
	s_wait_dscnt 0x2
	v_dot4_i32_iu8 v100, v16, v24, v35 neg_lo:[1,1,0]
	v_dot4_i32_iu8 v38, v16, v25, v38 neg_lo:[1,1,0]
	;; [unrolled: 1-line block ×16, first 2 shown]
	s_wait_dscnt 0x1
	v_dot4_i32_iu8 v60, v16, v28, v60 neg_lo:[1,1,0]
	v_dot4_i32_iu8 v61, v16, v29, v61 neg_lo:[1,1,0]
	;; [unrolled: 1-line block ×16, first 2 shown]
	ds_load_b128 v[16:19], v88 offset:4608
	s_wait_dscnt 0x1
	v_dot4_i32_iu8 v80, v20, v24, v80 neg_lo:[1,1,0]
	v_dot4_i32_iu8 v81, v20, v25, v81 neg_lo:[1,1,0]
	;; [unrolled: 1-line block ×15, first 2 shown]
	ds_load_b128 v[32:35], v89 offset:20992
	v_dot4_i32_iu8 v96, v23, v27, v96 neg_lo:[1,1,0]
	v_dot4_i32_iu8 v40, v20, v28, v40 neg_lo:[1,1,0]
	;; [unrolled: 1-line block ×15, first 2 shown]
	ds_load_b128 v[24:27], v89 offset:21248
	v_dot4_i32_iu8 v99, v23, v30, v99 neg_lo:[1,1,0]
	v_dot4_i32_iu8 v79, v23, v31, v79 neg_lo:[1,1,0]
	ds_load_b128 v[20:23], v88 offset:4864
	s_wait_dscnt 0x2
	v_dot4_i32_iu8 v100, v16, v32, v100 neg_lo:[1,1,0]
	v_dot4_i32_iu8 v38, v16, v33, v38 neg_lo:[1,1,0]
	;; [unrolled: 1-line block ×16, first 2 shown]
	s_wait_dscnt 0x1
	v_dot4_i32_iu8 v60, v16, v24, v60 neg_lo:[1,1,0]
	v_dot4_i32_iu8 v61, v16, v25, v61 neg_lo:[1,1,0]
	;; [unrolled: 1-line block ×16, first 2 shown]
	ds_load_b128 v[16:19], v88 offset:5120
	s_wait_dscnt 0x1
	v_dot4_i32_iu8 v80, v20, v32, v80 neg_lo:[1,1,0]
	v_dot4_i32_iu8 v81, v20, v33, v81 neg_lo:[1,1,0]
	v_dot4_i32_iu8 v82, v20, v34, v82 neg_lo:[1,1,0]
	v_dot4_i32_iu8 v83, v20, v35, v83 neg_lo:[1,1,0]
	v_dot4_i32_iu8 v84, v21, v32, v84 neg_lo:[1,1,0]
	v_dot4_i32_iu8 v85, v21, v33, v85 neg_lo:[1,1,0]
	v_dot4_i32_iu8 v86, v21, v34, v86 neg_lo:[1,1,0]
	v_dot4_i32_iu8 v87, v21, v35, v87 neg_lo:[1,1,0]
	v_dot4_i32_iu8 v101, v22, v32, v101 neg_lo:[1,1,0]
	v_dot4_i32_iu8 v102, v22, v33, v102 neg_lo:[1,1,0]
	v_dot4_i32_iu8 v103, v22, v34, v103 neg_lo:[1,1,0]
	v_dot4_i32_iu8 v104, v22, v35, v104 neg_lo:[1,1,0]
	v_dot4_i32_iu8 v93, v23, v32, v93 neg_lo:[1,1,0]
	v_dot4_i32_iu8 v94, v23, v33, v94 neg_lo:[1,1,0]
	v_dot4_i32_iu8 v95, v23, v34, v95 neg_lo:[1,1,0]
	ds_load_b128 v[28:31], v89 offset:21504
	v_dot4_i32_iu8 v96, v23, v35, v96 neg_lo:[1,1,0]
	v_dot4_i32_iu8 v40, v20, v24, v40 neg_lo:[1,1,0]
	v_dot4_i32_iu8 v41, v20, v25, v41 neg_lo:[1,1,0]
	v_dot4_i32_iu8 v42, v20, v26, v42 neg_lo:[1,1,0]
	v_dot4_i32_iu8 v76, v20, v27, v76 neg_lo:[1,1,0]
	v_dot4_i32_iu8 v36, v21, v24, v36 neg_lo:[1,1,0]
	v_dot4_i32_iu8 v43, v21, v25, v43 neg_lo:[1,1,0]
	v_dot4_i32_iu8 v48, v21, v26, v48 neg_lo:[1,1,0]
	v_dot4_i32_iu8 v77, v21, v27, v77 neg_lo:[1,1,0]
	v_dot4_i32_iu8 v37, v22, v24, v37 neg_lo:[1,1,0]
	v_dot4_i32_iu8 v49, v22, v25, v49 neg_lo:[1,1,0]
	v_dot4_i32_iu8 v52, v22, v26, v52 neg_lo:[1,1,0]
	v_dot4_i32_iu8 v78, v22, v27, v78 neg_lo:[1,1,0]
	v_dot4_i32_iu8 v97, v23, v24, v97 neg_lo:[1,1,0]
	v_dot4_i32_iu8 v98, v23, v25, v98 neg_lo:[1,1,0]
	ds_load_b128 v[32:35], v89 offset:21760
	v_dot4_i32_iu8 v99, v23, v26, v99 neg_lo:[1,1,0]
	v_dot4_i32_iu8 v79, v23, v27, v79 neg_lo:[1,1,0]
	ds_load_b128 v[20:23], v88 offset:5376
	s_wait_dscnt 0x2
	v_dot4_i32_iu8 v100, v16, v28, v100 neg_lo:[1,1,0]
	v_dot4_i32_iu8 v38, v16, v29, v38 neg_lo:[1,1,0]
	;; [unrolled: 1-line block ×16, first 2 shown]
	s_wait_dscnt 0x1
	v_dot4_i32_iu8 v60, v16, v32, v60 neg_lo:[1,1,0]
	v_dot4_i32_iu8 v61, v16, v33, v61 neg_lo:[1,1,0]
	v_dot4_i32_iu8 v62, v16, v34, v62 neg_lo:[1,1,0]
	v_dot4_i32_iu8 v63, v16, v35, v63 neg_lo:[1,1,0]
	v_dot4_i32_iu8 v64, v17, v32, v64 neg_lo:[1,1,0]
	v_dot4_i32_iu8 v65, v17, v33, v65 neg_lo:[1,1,0]
	v_dot4_i32_iu8 v66, v17, v34, v66 neg_lo:[1,1,0]
	v_dot4_i32_iu8 v67, v17, v35, v67 neg_lo:[1,1,0]
	v_dot4_i32_iu8 v68, v18, v32, v68 neg_lo:[1,1,0]
	v_dot4_i32_iu8 v69, v18, v33, v69 neg_lo:[1,1,0]
	v_dot4_i32_iu8 v70, v18, v34, v70 neg_lo:[1,1,0]
	v_dot4_i32_iu8 v71, v18, v35, v71 neg_lo:[1,1,0]
	v_dot4_i32_iu8 v72, v19, v32, v72 neg_lo:[1,1,0]
	v_dot4_i32_iu8 v73, v19, v33, v73 neg_lo:[1,1,0]
	v_dot4_i32_iu8 v74, v19, v34, v74 neg_lo:[1,1,0]
	v_dot4_i32_iu8 v75, v19, v35, v75 neg_lo:[1,1,0]
	ds_load_b128 v[16:19], v88 offset:5632
	s_wait_dscnt 0x1
	v_dot4_i32_iu8 v80, v20, v28, v80 neg_lo:[1,1,0]
	v_dot4_i32_iu8 v81, v20, v29, v81 neg_lo:[1,1,0]
	;; [unrolled: 1-line block ×15, first 2 shown]
	ds_load_b128 v[24:27], v89 offset:22016
	v_dot4_i32_iu8 v96, v23, v31, v96 neg_lo:[1,1,0]
	v_dot4_i32_iu8 v40, v20, v32, v40 neg_lo:[1,1,0]
	v_dot4_i32_iu8 v41, v20, v33, v41 neg_lo:[1,1,0]
	v_dot4_i32_iu8 v42, v20, v34, v42 neg_lo:[1,1,0]
	v_dot4_i32_iu8 v76, v20, v35, v76 neg_lo:[1,1,0]
	v_dot4_i32_iu8 v36, v21, v32, v36 neg_lo:[1,1,0]
	v_dot4_i32_iu8 v43, v21, v33, v43 neg_lo:[1,1,0]
	v_dot4_i32_iu8 v48, v21, v34, v48 neg_lo:[1,1,0]
	v_dot4_i32_iu8 v77, v21, v35, v77 neg_lo:[1,1,0]
	v_dot4_i32_iu8 v37, v22, v32, v37 neg_lo:[1,1,0]
	v_dot4_i32_iu8 v49, v22, v33, v49 neg_lo:[1,1,0]
	v_dot4_i32_iu8 v52, v22, v34, v52 neg_lo:[1,1,0]
	v_dot4_i32_iu8 v78, v22, v35, v78 neg_lo:[1,1,0]
	v_dot4_i32_iu8 v97, v23, v32, v97 neg_lo:[1,1,0]
	v_dot4_i32_iu8 v98, v23, v33, v98 neg_lo:[1,1,0]
	ds_load_b128 v[28:31], v89 offset:22272
	v_dot4_i32_iu8 v99, v23, v34, v99 neg_lo:[1,1,0]
	v_dot4_i32_iu8 v79, v23, v35, v79 neg_lo:[1,1,0]
	ds_load_b128 v[20:23], v88 offset:5888
	s_wait_dscnt 0x2
	v_dot4_i32_iu8 v100, v16, v24, v100 neg_lo:[1,1,0]
	v_dot4_i32_iu8 v38, v16, v25, v38 neg_lo:[1,1,0]
	;; [unrolled: 1-line block ×16, first 2 shown]
	s_wait_dscnt 0x1
	v_dot4_i32_iu8 v60, v16, v28, v60 neg_lo:[1,1,0]
	v_dot4_i32_iu8 v61, v16, v29, v61 neg_lo:[1,1,0]
	;; [unrolled: 1-line block ×16, first 2 shown]
	ds_load_b128 v[16:19], v88 offset:6144
	s_wait_dscnt 0x1
	v_dot4_i32_iu8 v80, v20, v24, v80 neg_lo:[1,1,0]
	v_dot4_i32_iu8 v81, v20, v25, v81 neg_lo:[1,1,0]
	v_dot4_i32_iu8 v82, v20, v26, v82 neg_lo:[1,1,0]
	v_dot4_i32_iu8 v83, v20, v27, v83 neg_lo:[1,1,0]
	v_dot4_i32_iu8 v84, v21, v24, v84 neg_lo:[1,1,0]
	v_dot4_i32_iu8 v85, v21, v25, v85 neg_lo:[1,1,0]
	v_dot4_i32_iu8 v86, v21, v26, v86 neg_lo:[1,1,0]
	v_dot4_i32_iu8 v87, v21, v27, v87 neg_lo:[1,1,0]
	v_dot4_i32_iu8 v101, v22, v24, v101 neg_lo:[1,1,0]
	v_dot4_i32_iu8 v102, v22, v25, v102 neg_lo:[1,1,0]
	v_dot4_i32_iu8 v103, v22, v26, v103 neg_lo:[1,1,0]
	v_dot4_i32_iu8 v104, v22, v27, v104 neg_lo:[1,1,0]
	v_dot4_i32_iu8 v93, v23, v24, v93 neg_lo:[1,1,0]
	v_dot4_i32_iu8 v94, v23, v25, v94 neg_lo:[1,1,0]
	v_dot4_i32_iu8 v95, v23, v26, v95 neg_lo:[1,1,0]
	ds_load_b128 v[32:35], v89 offset:22528
	v_dot4_i32_iu8 v96, v23, v27, v96 neg_lo:[1,1,0]
	v_dot4_i32_iu8 v40, v20, v28, v40 neg_lo:[1,1,0]
	;; [unrolled: 1-line block ×15, first 2 shown]
	ds_load_b128 v[24:27], v89 offset:22784
	v_dot4_i32_iu8 v99, v23, v30, v99 neg_lo:[1,1,0]
	v_dot4_i32_iu8 v79, v23, v31, v79 neg_lo:[1,1,0]
	ds_load_b128 v[20:23], v88 offset:6400
	s_wait_dscnt 0x2
	v_dot4_i32_iu8 v100, v16, v32, v100 neg_lo:[1,1,0]
	v_dot4_i32_iu8 v38, v16, v33, v38 neg_lo:[1,1,0]
	;; [unrolled: 1-line block ×16, first 2 shown]
	s_wait_dscnt 0x1
	v_dot4_i32_iu8 v60, v16, v24, v60 neg_lo:[1,1,0]
	v_dot4_i32_iu8 v61, v16, v25, v61 neg_lo:[1,1,0]
	;; [unrolled: 1-line block ×16, first 2 shown]
	ds_load_b128 v[16:19], v88 offset:6656
	s_wait_dscnt 0x1
	v_dot4_i32_iu8 v80, v20, v32, v80 neg_lo:[1,1,0]
	v_dot4_i32_iu8 v81, v20, v33, v81 neg_lo:[1,1,0]
	v_dot4_i32_iu8 v82, v20, v34, v82 neg_lo:[1,1,0]
	v_dot4_i32_iu8 v83, v20, v35, v83 neg_lo:[1,1,0]
	v_dot4_i32_iu8 v84, v21, v32, v84 neg_lo:[1,1,0]
	v_dot4_i32_iu8 v85, v21, v33, v85 neg_lo:[1,1,0]
	v_dot4_i32_iu8 v86, v21, v34, v86 neg_lo:[1,1,0]
	v_dot4_i32_iu8 v87, v21, v35, v87 neg_lo:[1,1,0]
	v_dot4_i32_iu8 v101, v22, v32, v101 neg_lo:[1,1,0]
	v_dot4_i32_iu8 v102, v22, v33, v102 neg_lo:[1,1,0]
	v_dot4_i32_iu8 v103, v22, v34, v103 neg_lo:[1,1,0]
	v_dot4_i32_iu8 v104, v22, v35, v104 neg_lo:[1,1,0]
	v_dot4_i32_iu8 v93, v23, v32, v93 neg_lo:[1,1,0]
	v_dot4_i32_iu8 v94, v23, v33, v94 neg_lo:[1,1,0]
	v_dot4_i32_iu8 v95, v23, v34, v95 neg_lo:[1,1,0]
	ds_load_b128 v[28:31], v89 offset:23040
	v_dot4_i32_iu8 v96, v23, v35, v96 neg_lo:[1,1,0]
	v_dot4_i32_iu8 v40, v20, v24, v40 neg_lo:[1,1,0]
	;; [unrolled: 1-line block ×15, first 2 shown]
	ds_load_b128 v[32:35], v89 offset:23296
	v_dot4_i32_iu8 v99, v23, v26, v99 neg_lo:[1,1,0]
	v_dot4_i32_iu8 v79, v23, v27, v79 neg_lo:[1,1,0]
	ds_load_b128 v[20:23], v88 offset:6912
	s_wait_dscnt 0x2
	v_dot4_i32_iu8 v100, v16, v28, v100 neg_lo:[1,1,0]
	v_dot4_i32_iu8 v38, v16, v29, v38 neg_lo:[1,1,0]
	;; [unrolled: 1-line block ×16, first 2 shown]
	s_wait_dscnt 0x1
	v_dot4_i32_iu8 v60, v16, v32, v60 neg_lo:[1,1,0]
	v_dot4_i32_iu8 v61, v16, v33, v61 neg_lo:[1,1,0]
	;; [unrolled: 1-line block ×16, first 2 shown]
	ds_load_b128 v[16:19], v88 offset:7168
	s_wait_dscnt 0x1
	v_dot4_i32_iu8 v80, v20, v28, v80 neg_lo:[1,1,0]
	v_dot4_i32_iu8 v81, v20, v29, v81 neg_lo:[1,1,0]
	;; [unrolled: 1-line block ×15, first 2 shown]
	ds_load_b128 v[24:27], v89 offset:23552
	v_dot4_i32_iu8 v96, v23, v31, v96 neg_lo:[1,1,0]
	v_dot4_i32_iu8 v40, v20, v32, v40 neg_lo:[1,1,0]
	;; [unrolled: 1-line block ×15, first 2 shown]
	ds_load_b128 v[28:31], v89 offset:23808
	v_dot4_i32_iu8 v99, v23, v34, v99 neg_lo:[1,1,0]
	v_dot4_i32_iu8 v79, v23, v35, v79 neg_lo:[1,1,0]
	ds_load_b128 v[20:23], v88 offset:7424
	s_and_b32 s6, s15, s6
	s_wait_dscnt 0x2
	v_dot4_i32_iu8 v100, v16, v24, v100 neg_lo:[1,1,0]
	s_and_b32 s3, s2, s6
	s_and_b32 s2, s2, s4
	s_wait_loadcnt 0x2
	s_wait_alu 0xfffe
	v_cndmask_b32_e64 v15, 0, v15, s3
	v_cndmask_b32_e64 v14, 0, v14, s3
	v_dot4_i32_iu8 v38, v16, v25, v38 neg_lo:[1,1,0]
	v_dot4_i32_iu8 v39, v16, v26, v39 neg_lo:[1,1,0]
	;; [unrolled: 1-line block ×15, first 2 shown]
	s_wait_dscnt 0x1
	v_dot4_i32_iu8 v60, v16, v28, v60 neg_lo:[1,1,0]
	v_dot4_i32_iu8 v61, v16, v29, v61 neg_lo:[1,1,0]
	;; [unrolled: 1-line block ×16, first 2 shown]
	ds_load_b128 v[16:19], v88 offset:7680
	s_wait_dscnt 0x1
	v_dot4_i32_iu8 v80, v20, v24, v80 neg_lo:[1,1,0]
	v_dot4_i32_iu8 v81, v20, v25, v81 neg_lo:[1,1,0]
	;; [unrolled: 1-line block ×15, first 2 shown]
	ds_load_b128 v[32:35], v89 offset:24064
	v_dot4_i32_iu8 v96, v23, v27, v96 neg_lo:[1,1,0]
	v_dot4_i32_iu8 v40, v20, v28, v40 neg_lo:[1,1,0]
	;; [unrolled: 1-line block ×15, first 2 shown]
	ds_load_b128 v[24:27], v89 offset:24320
	v_dot4_i32_iu8 v30, v23, v30, v99 neg_lo:[1,1,0]
	v_dot4_i32_iu8 v31, v23, v31, v79 neg_lo:[1,1,0]
	ds_load_b128 v[20:23], v88 offset:7936
	v_cndmask_b32_e64 v9, 0, v9, s2
	v_cndmask_b32_e64 v8, 0, v8, s2
	;; [unrolled: 1-line block ×4, first 2 shown]
	s_wait_loadcnt 0x1
	v_cndmask_b32_e64 v5, 0, v5, s1
	v_cndmask_b32_e64 v4, 0, v4, s1
	v_cndmask_b32_e64 v13, 0, v13, s3
	v_cndmask_b32_e64 v12, 0, v12, s3
	v_cndmask_b32_e64 v7, 0, v7, s1
	v_cndmask_b32_e64 v6, 0, v6, s1
	s_wait_loadcnt 0x0
	v_dual_cndmask_b32 v1, 0, v1 :: v_dual_cndmask_b32 v0, 0, v0
	v_dual_cndmask_b32 v3, 0, v3 :: v_dual_cndmask_b32 v2, 0, v2
	ds_store_2addr_stride64_b32 v92, v8, v9 offset0:32 offset1:34
	ds_store_2addr_stride64_b32 v92, v10, v11 offset0:36 offset1:38
	;; [unrolled: 1-line block ×8, first 2 shown]
	s_wait_dscnt 0x0
	s_barrier_signal -1
	s_barrier_wait -1
	ds_load_b128 v[0:3], v88 offset:8192
	ds_load_b128 v[4:7], v89 offset:24576
	;; [unrolled: 1-line block ×4, first 2 shown]
	v_dot4_i32_iu8 v79, v16, v32, v100 neg_lo:[1,1,0]
	v_dot4_i32_iu8 v38, v16, v33, v38 neg_lo:[1,1,0]
	;; [unrolled: 1-line block ×64, first 2 shown]
	s_wait_dscnt 0x2
	v_dot4_i32_iu8 v27, v0, v4, v79 neg_lo:[1,1,0]
	v_dot4_i32_iu8 v28, v0, v5, v38 neg_lo:[1,1,0]
	;; [unrolled: 1-line block ×16, first 2 shown]
	s_wait_dscnt 0x1
	v_dot4_i32_iu8 v56, v0, v8, v60 neg_lo:[1,1,0]
	v_dot4_i32_iu8 v57, v0, v9, v61 neg_lo:[1,1,0]
	;; [unrolled: 1-line block ×16, first 2 shown]
	ds_load_b128 v[0:3], v88 offset:8704
	s_wait_dscnt 0x1
	v_dot4_i32_iu8 v72, v12, v4, v72 neg_lo:[1,1,0]
	v_dot4_i32_iu8 v73, v12, v5, v73 neg_lo:[1,1,0]
	;; [unrolled: 1-line block ×15, first 2 shown]
	ds_load_b128 v[16:19], v89 offset:25088
	v_dot4_i32_iu8 v35, v15, v7, v35 neg_lo:[1,1,0]
	v_dot4_i32_iu8 v40, v12, v8, v40 neg_lo:[1,1,0]
	;; [unrolled: 1-line block ×15, first 2 shown]
	ds_load_b128 v[4:7], v89 offset:25344
	v_dot4_i32_iu8 v26, v15, v10, v26 neg_lo:[1,1,0]
	v_dot4_i32_iu8 v23, v15, v11, v23 neg_lo:[1,1,0]
	ds_load_b128 v[8:11], v88 offset:8960
	s_wait_dscnt 0x2
	v_dot4_i32_iu8 v27, v0, v16, v27 neg_lo:[1,1,0]
	v_dot4_i32_iu8 v28, v0, v17, v28 neg_lo:[1,1,0]
	;; [unrolled: 1-line block ×16, first 2 shown]
	s_wait_dscnt 0x1
	v_dot4_i32_iu8 v56, v0, v4, v56 neg_lo:[1,1,0]
	v_dot4_i32_iu8 v57, v0, v5, v57 neg_lo:[1,1,0]
	;; [unrolled: 1-line block ×16, first 2 shown]
	ds_load_b128 v[0:3], v88 offset:9216
	s_wait_dscnt 0x1
	v_dot4_i32_iu8 v72, v8, v16, v72 neg_lo:[1,1,0]
	v_dot4_i32_iu8 v73, v8, v17, v73 neg_lo:[1,1,0]
	;; [unrolled: 1-line block ×15, first 2 shown]
	ds_load_b128 v[12:15], v89 offset:25600
	v_dot4_i32_iu8 v35, v11, v19, v35 neg_lo:[1,1,0]
	v_dot4_i32_iu8 v40, v8, v4, v40 neg_lo:[1,1,0]
	;; [unrolled: 1-line block ×15, first 2 shown]
	ds_load_b128 v[16:19], v89 offset:25856
	v_dot4_i32_iu8 v26, v11, v6, v26 neg_lo:[1,1,0]
	v_dot4_i32_iu8 v23, v11, v7, v23 neg_lo:[1,1,0]
	ds_load_b128 v[4:7], v88 offset:9472
	s_wait_dscnt 0x2
	v_dot4_i32_iu8 v27, v0, v12, v27 neg_lo:[1,1,0]
	v_dot4_i32_iu8 v28, v0, v13, v28 neg_lo:[1,1,0]
	;; [unrolled: 1-line block ×16, first 2 shown]
	s_wait_dscnt 0x1
	v_dot4_i32_iu8 v56, v0, v16, v56 neg_lo:[1,1,0]
	v_dot4_i32_iu8 v57, v0, v17, v57 neg_lo:[1,1,0]
	;; [unrolled: 1-line block ×16, first 2 shown]
	ds_load_b128 v[0:3], v88 offset:9728
	s_wait_dscnt 0x1
	v_dot4_i32_iu8 v72, v4, v12, v72 neg_lo:[1,1,0]
	v_dot4_i32_iu8 v73, v4, v13, v73 neg_lo:[1,1,0]
	;; [unrolled: 1-line block ×15, first 2 shown]
	ds_load_b128 v[8:11], v89 offset:26112
	v_dot4_i32_iu8 v35, v7, v15, v35 neg_lo:[1,1,0]
	v_dot4_i32_iu8 v40, v4, v16, v40 neg_lo:[1,1,0]
	;; [unrolled: 1-line block ×15, first 2 shown]
	ds_load_b128 v[12:15], v89 offset:26368
	v_dot4_i32_iu8 v26, v7, v18, v26 neg_lo:[1,1,0]
	v_dot4_i32_iu8 v23, v7, v19, v23 neg_lo:[1,1,0]
	ds_load_b128 v[4:7], v88 offset:9984
	s_wait_dscnt 0x2
	v_dot4_i32_iu8 v27, v0, v8, v27 neg_lo:[1,1,0]
	v_dot4_i32_iu8 v28, v0, v9, v28 neg_lo:[1,1,0]
	;; [unrolled: 1-line block ×16, first 2 shown]
	s_wait_dscnt 0x1
	v_dot4_i32_iu8 v56, v0, v12, v56 neg_lo:[1,1,0]
	v_dot4_i32_iu8 v57, v0, v13, v57 neg_lo:[1,1,0]
	;; [unrolled: 1-line block ×16, first 2 shown]
	ds_load_b128 v[0:3], v88 offset:10240
	s_wait_dscnt 0x1
	v_dot4_i32_iu8 v72, v4, v8, v72 neg_lo:[1,1,0]
	v_dot4_i32_iu8 v73, v4, v9, v73 neg_lo:[1,1,0]
	;; [unrolled: 1-line block ×15, first 2 shown]
	ds_load_b128 v[16:19], v89 offset:26624
	v_dot4_i32_iu8 v35, v7, v11, v35 neg_lo:[1,1,0]
	v_dot4_i32_iu8 v40, v4, v12, v40 neg_lo:[1,1,0]
	;; [unrolled: 1-line block ×15, first 2 shown]
	ds_load_b128 v[8:11], v89 offset:26880
	v_dot4_i32_iu8 v26, v7, v14, v26 neg_lo:[1,1,0]
	v_dot4_i32_iu8 v23, v7, v15, v23 neg_lo:[1,1,0]
	ds_load_b128 v[4:7], v88 offset:10496
	s_wait_dscnt 0x2
	v_dot4_i32_iu8 v27, v0, v16, v27 neg_lo:[1,1,0]
	v_dot4_i32_iu8 v28, v0, v17, v28 neg_lo:[1,1,0]
	;; [unrolled: 1-line block ×16, first 2 shown]
	s_wait_dscnt 0x1
	v_dot4_i32_iu8 v56, v0, v8, v56 neg_lo:[1,1,0]
	v_dot4_i32_iu8 v57, v0, v9, v57 neg_lo:[1,1,0]
	;; [unrolled: 1-line block ×16, first 2 shown]
	ds_load_b128 v[0:3], v88 offset:10752
	s_wait_dscnt 0x1
	v_dot4_i32_iu8 v72, v4, v16, v72 neg_lo:[1,1,0]
	v_dot4_i32_iu8 v73, v4, v17, v73 neg_lo:[1,1,0]
	;; [unrolled: 1-line block ×15, first 2 shown]
	ds_load_b128 v[12:15], v89 offset:27136
	v_dot4_i32_iu8 v35, v7, v19, v35 neg_lo:[1,1,0]
	v_dot4_i32_iu8 v40, v4, v8, v40 neg_lo:[1,1,0]
	;; [unrolled: 1-line block ×15, first 2 shown]
	ds_load_b128 v[16:19], v89 offset:27392
	v_dot4_i32_iu8 v26, v7, v10, v26 neg_lo:[1,1,0]
	v_dot4_i32_iu8 v23, v7, v11, v23 neg_lo:[1,1,0]
	ds_load_b128 v[4:7], v88 offset:11008
	s_wait_dscnt 0x2
	v_dot4_i32_iu8 v27, v0, v12, v27 neg_lo:[1,1,0]
	v_dot4_i32_iu8 v28, v0, v13, v28 neg_lo:[1,1,0]
	;; [unrolled: 1-line block ×16, first 2 shown]
	s_wait_dscnt 0x1
	v_dot4_i32_iu8 v56, v0, v16, v56 neg_lo:[1,1,0]
	v_dot4_i32_iu8 v57, v0, v17, v57 neg_lo:[1,1,0]
	;; [unrolled: 1-line block ×16, first 2 shown]
	ds_load_b128 v[0:3], v88 offset:11264
	s_wait_dscnt 0x1
	v_dot4_i32_iu8 v72, v4, v12, v72 neg_lo:[1,1,0]
	v_dot4_i32_iu8 v73, v4, v13, v73 neg_lo:[1,1,0]
	;; [unrolled: 1-line block ×15, first 2 shown]
	ds_load_b128 v[8:11], v89 offset:27648
	v_dot4_i32_iu8 v35, v7, v15, v35 neg_lo:[1,1,0]
	v_dot4_i32_iu8 v40, v4, v16, v40 neg_lo:[1,1,0]
	;; [unrolled: 1-line block ×15, first 2 shown]
	ds_load_b128 v[12:15], v89 offset:27904
	v_dot4_i32_iu8 v26, v7, v18, v26 neg_lo:[1,1,0]
	v_dot4_i32_iu8 v23, v7, v19, v23 neg_lo:[1,1,0]
	ds_load_b128 v[4:7], v88 offset:11520
	s_wait_dscnt 0x2
	v_dot4_i32_iu8 v27, v0, v8, v27 neg_lo:[1,1,0]
	v_dot4_i32_iu8 v28, v0, v9, v28 neg_lo:[1,1,0]
	;; [unrolled: 1-line block ×16, first 2 shown]
	s_wait_dscnt 0x1
	v_dot4_i32_iu8 v56, v0, v12, v56 neg_lo:[1,1,0]
	v_dot4_i32_iu8 v57, v0, v13, v57 neg_lo:[1,1,0]
	v_dot4_i32_iu8 v58, v0, v14, v58 neg_lo:[1,1,0]
	v_dot4_i32_iu8 v59, v0, v15, v59 neg_lo:[1,1,0]
	v_dot4_i32_iu8 v60, v1, v12, v60 neg_lo:[1,1,0]
	v_dot4_i32_iu8 v61, v1, v13, v61 neg_lo:[1,1,0]
	v_dot4_i32_iu8 v62, v1, v14, v62 neg_lo:[1,1,0]
	v_dot4_i32_iu8 v63, v1, v15, v63 neg_lo:[1,1,0]
	v_dot4_i32_iu8 v64, v2, v12, v64 neg_lo:[1,1,0]
	v_dot4_i32_iu8 v65, v2, v13, v65 neg_lo:[1,1,0]
	v_dot4_i32_iu8 v66, v2, v14, v66 neg_lo:[1,1,0]
	v_dot4_i32_iu8 v67, v2, v15, v67 neg_lo:[1,1,0]
	v_dot4_i32_iu8 v68, v3, v12, v68 neg_lo:[1,1,0]
	v_dot4_i32_iu8 v69, v3, v13, v69 neg_lo:[1,1,0]
	v_dot4_i32_iu8 v70, v3, v14, v70 neg_lo:[1,1,0]
	v_dot4_i32_iu8 v71, v3, v15, v71 neg_lo:[1,1,0]
	ds_load_b128 v[0:3], v88 offset:11776
	s_wait_dscnt 0x1
	v_dot4_i32_iu8 v72, v4, v8, v72 neg_lo:[1,1,0]
	v_dot4_i32_iu8 v73, v4, v9, v73 neg_lo:[1,1,0]
	;; [unrolled: 1-line block ×15, first 2 shown]
	ds_load_b128 v[16:19], v89 offset:28160
	v_dot4_i32_iu8 v35, v7, v11, v35 neg_lo:[1,1,0]
	v_dot4_i32_iu8 v40, v4, v12, v40 neg_lo:[1,1,0]
	;; [unrolled: 1-line block ×15, first 2 shown]
	ds_load_b128 v[8:11], v89 offset:28416
	v_dot4_i32_iu8 v26, v7, v14, v26 neg_lo:[1,1,0]
	v_dot4_i32_iu8 v23, v7, v15, v23 neg_lo:[1,1,0]
	ds_load_b128 v[4:7], v88 offset:12032
	s_wait_dscnt 0x2
	v_dot4_i32_iu8 v27, v0, v16, v27 neg_lo:[1,1,0]
	v_dot4_i32_iu8 v28, v0, v17, v28 neg_lo:[1,1,0]
	;; [unrolled: 1-line block ×16, first 2 shown]
	s_wait_dscnt 0x1
	v_dot4_i32_iu8 v56, v0, v8, v56 neg_lo:[1,1,0]
	v_dot4_i32_iu8 v57, v0, v9, v57 neg_lo:[1,1,0]
	;; [unrolled: 1-line block ×16, first 2 shown]
	ds_load_b128 v[0:3], v88 offset:12288
	s_wait_dscnt 0x1
	v_dot4_i32_iu8 v72, v4, v16, v72 neg_lo:[1,1,0]
	v_dot4_i32_iu8 v73, v4, v17, v73 neg_lo:[1,1,0]
	;; [unrolled: 1-line block ×15, first 2 shown]
	ds_load_b128 v[12:15], v89 offset:28672
	v_dot4_i32_iu8 v35, v7, v19, v35 neg_lo:[1,1,0]
	v_dot4_i32_iu8 v40, v4, v8, v40 neg_lo:[1,1,0]
	;; [unrolled: 1-line block ×15, first 2 shown]
	ds_load_b128 v[16:19], v89 offset:28928
	v_dot4_i32_iu8 v26, v7, v10, v26 neg_lo:[1,1,0]
	v_dot4_i32_iu8 v23, v7, v11, v23 neg_lo:[1,1,0]
	ds_load_b128 v[4:7], v88 offset:12544
	s_wait_dscnt 0x2
	v_dot4_i32_iu8 v27, v0, v12, v27 neg_lo:[1,1,0]
	v_dot4_i32_iu8 v28, v0, v13, v28 neg_lo:[1,1,0]
	;; [unrolled: 1-line block ×16, first 2 shown]
	s_wait_dscnt 0x1
	v_dot4_i32_iu8 v56, v0, v16, v56 neg_lo:[1,1,0]
	v_dot4_i32_iu8 v57, v0, v17, v57 neg_lo:[1,1,0]
	;; [unrolled: 1-line block ×16, first 2 shown]
	ds_load_b128 v[0:3], v88 offset:12800
	s_wait_dscnt 0x1
	v_dot4_i32_iu8 v72, v4, v12, v72 neg_lo:[1,1,0]
	v_dot4_i32_iu8 v73, v4, v13, v73 neg_lo:[1,1,0]
	v_dot4_i32_iu8 v74, v4, v14, v74 neg_lo:[1,1,0]
	v_dot4_i32_iu8 v75, v4, v15, v75 neg_lo:[1,1,0]
	v_dot4_i32_iu8 v76, v5, v12, v76 neg_lo:[1,1,0]
	v_dot4_i32_iu8 v77, v5, v13, v77 neg_lo:[1,1,0]
	v_dot4_i32_iu8 v78, v5, v14, v78 neg_lo:[1,1,0]
	v_dot4_i32_iu8 v79, v5, v15, v79 neg_lo:[1,1,0]
	v_dot4_i32_iu8 v80, v6, v12, v80 neg_lo:[1,1,0]
	v_dot4_i32_iu8 v81, v6, v13, v81 neg_lo:[1,1,0]
	v_dot4_i32_iu8 v82, v6, v14, v82 neg_lo:[1,1,0]
	v_dot4_i32_iu8 v83, v6, v15, v83 neg_lo:[1,1,0]
	v_dot4_i32_iu8 v32, v7, v12, v32 neg_lo:[1,1,0]
	v_dot4_i32_iu8 v33, v7, v13, v33 neg_lo:[1,1,0]
	v_dot4_i32_iu8 v34, v7, v14, v34 neg_lo:[1,1,0]
	ds_load_b128 v[8:11], v89 offset:29184
	v_dot4_i32_iu8 v35, v7, v15, v35 neg_lo:[1,1,0]
	v_dot4_i32_iu8 v40, v4, v16, v40 neg_lo:[1,1,0]
	;; [unrolled: 1-line block ×15, first 2 shown]
	ds_load_b128 v[12:15], v89 offset:29440
	v_dot4_i32_iu8 v26, v7, v18, v26 neg_lo:[1,1,0]
	v_dot4_i32_iu8 v23, v7, v19, v23 neg_lo:[1,1,0]
	ds_load_b128 v[4:7], v88 offset:13056
	s_wait_dscnt 0x2
	v_dot4_i32_iu8 v27, v0, v8, v27 neg_lo:[1,1,0]
	v_dot4_i32_iu8 v28, v0, v9, v28 neg_lo:[1,1,0]
	;; [unrolled: 1-line block ×16, first 2 shown]
	s_wait_dscnt 0x1
	v_dot4_i32_iu8 v56, v0, v12, v56 neg_lo:[1,1,0]
	v_dot4_i32_iu8 v57, v0, v13, v57 neg_lo:[1,1,0]
	;; [unrolled: 1-line block ×16, first 2 shown]
	ds_load_b128 v[0:3], v88 offset:13312
	s_wait_dscnt 0x1
	v_dot4_i32_iu8 v72, v4, v8, v72 neg_lo:[1,1,0]
	v_dot4_i32_iu8 v73, v4, v9, v73 neg_lo:[1,1,0]
	;; [unrolled: 1-line block ×15, first 2 shown]
	ds_load_b128 v[16:19], v89 offset:29696
	v_dot4_i32_iu8 v35, v7, v11, v35 neg_lo:[1,1,0]
	v_dot4_i32_iu8 v40, v4, v12, v40 neg_lo:[1,1,0]
	;; [unrolled: 1-line block ×15, first 2 shown]
	ds_load_b128 v[8:11], v89 offset:29952
	v_dot4_i32_iu8 v26, v7, v14, v26 neg_lo:[1,1,0]
	v_dot4_i32_iu8 v23, v7, v15, v23 neg_lo:[1,1,0]
	ds_load_b128 v[4:7], v88 offset:13568
	s_wait_dscnt 0x2
	v_dot4_i32_iu8 v27, v0, v16, v27 neg_lo:[1,1,0]
	v_dot4_i32_iu8 v28, v0, v17, v28 neg_lo:[1,1,0]
	;; [unrolled: 1-line block ×16, first 2 shown]
	s_wait_dscnt 0x1
	v_dot4_i32_iu8 v56, v0, v8, v56 neg_lo:[1,1,0]
	v_dot4_i32_iu8 v57, v0, v9, v57 neg_lo:[1,1,0]
	;; [unrolled: 1-line block ×16, first 2 shown]
	ds_load_b128 v[0:3], v88 offset:13824
	s_wait_dscnt 0x1
	v_dot4_i32_iu8 v72, v4, v16, v72 neg_lo:[1,1,0]
	v_dot4_i32_iu8 v73, v4, v17, v73 neg_lo:[1,1,0]
	;; [unrolled: 1-line block ×15, first 2 shown]
	ds_load_b128 v[12:15], v89 offset:30208
	v_dot4_i32_iu8 v35, v7, v19, v35 neg_lo:[1,1,0]
	ds_load_b128 v[16:19], v89 offset:30464
	v_dot4_i32_iu8 v84, v4, v11, v20 neg_lo:[1,1,0]
	v_dot4_i32_iu8 v85, v5, v11, v21 neg_lo:[1,1,0]
	;; [unrolled: 1-line block ×16, first 2 shown]
	ds_load_b128 v[4:7], v88 offset:14080
	ds_load_b128 v[8:11], v88 offset:14336
	s_wait_dscnt 0x3
	v_dot4_i32_iu8 v27, v0, v12, v27 neg_lo:[1,1,0]
	v_dot4_i32_iu8 v28, v0, v13, v28 neg_lo:[1,1,0]
	;; [unrolled: 1-line block ×4, first 2 shown]
	s_wait_dscnt 0x2
	v_dot4_i32_iu8 v56, v0, v16, v56 neg_lo:[1,1,0]
	v_dot4_i32_iu8 v57, v0, v17, v57 neg_lo:[1,1,0]
	;; [unrolled: 1-line block ×4, first 2 shown]
	v_or_b32_e32 v0, s31, v91
	v_dot4_i32_iu8 v45, v2, v12, v45 neg_lo:[1,1,0]
	v_dot4_i32_iu8 v46, v2, v13, v46 neg_lo:[1,1,0]
	;; [unrolled: 1-line block ×8, first 2 shown]
	v_mul_lo_u32 v2, v0, s76
	v_dot4_i32_iu8 v31, v1, v12, v31 neg_lo:[1,1,0]
	v_dot4_i32_iu8 v38, v1, v13, v38 neg_lo:[1,1,0]
	;; [unrolled: 1-line block ×8, first 2 shown]
	v_add_nc_u32_e32 v1, s45, v90
	s_mov_b32 s31, s27
	s_lshl_b32 s0, s77, 6
	s_wait_dscnt 0x1
	v_dot4_i32_iu8 v72, v4, v12, v72 neg_lo:[1,1,0]
	v_dot4_i32_iu8 v73, v4, v13, v73 neg_lo:[1,1,0]
	v_mad_co_u64_u32 v[20:21], null, v1, s77, v[2:3]
	v_dot4_i32_iu8 v74, v4, v14, v74 neg_lo:[1,1,0]
	v_dot4_i32_iu8 v75, v4, v15, v75 neg_lo:[1,1,0]
	;; [unrolled: 1-line block ×6, first 2 shown]
	s_wait_kmcnt 0x0
	buffer_load_b32 v2, v20, s[28:31], null offen
	v_add_nc_u32_e32 v4, s0, v20
	v_dot4_i32_iu8 v51, v3, v12, v51 neg_lo:[1,1,0]
	v_dot4_i32_iu8 v53, v3, v13, v53 neg_lo:[1,1,0]
	;; [unrolled: 1-line block ×8, first 2 shown]
	buffer_load_b32 v3, v4, s[28:31], null offen
	s_add_co_i32 s1, s0, s76
	s_lshl_b32 s2, s77, 7
	v_dot4_i32_iu8 v76, v5, v12, v76 neg_lo:[1,1,0]
	s_wait_alu 0xfffe
	s_sub_co_i32 s1, s1, s2
	v_dot4_i32_iu8 v77, v5, v13, v77 neg_lo:[1,1,0]
	v_dot4_i32_iu8 v78, v5, v14, v78 neg_lo:[1,1,0]
	;; [unrolled: 1-line block ×7, first 2 shown]
	s_wait_alu 0xfffe
	v_add_nc_u32_e32 v5, s1, v4
	v_dot4_i32_iu8 v80, v6, v12, v80 neg_lo:[1,1,0]
	v_dot4_i32_iu8 v81, v6, v13, v81 neg_lo:[1,1,0]
	;; [unrolled: 1-line block ×8, first 2 shown]
	ds_load_b128 v[12:15], v89 offset:30720
	v_dot4_i32_iu8 v37, v6, v16, v37 neg_lo:[1,1,0]
	v_dot4_i32_iu8 v49, v6, v17, v49 neg_lo:[1,1,0]
	;; [unrolled: 1-line block ×8, first 2 shown]
	ds_load_b128 v[16:19], v89 offset:30976
	ds_load_b128 v[20:23], v88 offset:14592
	buffer_load_b32 v4, v5, s[28:31], null offen
	v_add_nc_u32_e32 v6, s0, v5
	s_mul_i32 s2, s76, 60
	v_cmp_gt_i32_e32 vcc_lo, s36, v1
	s_lshl_b32 s3, s35, 6
	buffer_load_b32 v5, v6, s[28:31], null offen
	v_add_nc_u32_e32 v87, s1, v6
	s_wait_dscnt 0x2
	v_dot4_i32_iu8 v27, v8, v12, v27 neg_lo:[1,1,0]
	v_dot4_i32_iu8 v28, v8, v13, v28 neg_lo:[1,1,0]
	buffer_load_b32 v6, v87, s[28:31], null offen
	v_add_nc_u32_e32 v87, s0, v87
	v_dot4_i32_iu8 v29, v8, v14, v29 neg_lo:[1,1,0]
	v_dot4_i32_iu8 v30, v8, v15, v30 neg_lo:[1,1,0]
	;; [unrolled: 1-line block ×5, first 2 shown]
	s_wait_dscnt 0x0
	v_dot4_i32_iu8 v90, v23, v19, v7 neg_lo:[1,1,0]
	buffer_load_b32 v7, v87, s[28:31], null offen
	v_add_nc_u32_e32 v87, s1, v87
	v_dot4_i32_iu8 v44, v9, v15, v44 neg_lo:[1,1,0]
	v_dot4_i32_iu8 v45, v10, v12, v45 neg_lo:[1,1,0]
	;; [unrolled: 1-line block ×4, first 2 shown]
	buffer_load_b32 v91, v87, s[28:31], null offen
	v_add_nc_u32_e32 v87, s0, v87
	v_dot4_i32_iu8 v50, v10, v15, v50 neg_lo:[1,1,0]
	v_dot4_i32_iu8 v51, v11, v12, v51 neg_lo:[1,1,0]
	;; [unrolled: 1-line block ×4, first 2 shown]
	buffer_load_b32 v92, v87, s[28:31], null offen
	v_add3_u32 v87, s1, s2, v87
	v_dot4_i32_iu8 v55, v11, v15, v55 neg_lo:[1,1,0]
	v_dot4_i32_iu8 v56, v8, v16, v56 neg_lo:[1,1,0]
	;; [unrolled: 1-line block ×17, first 2 shown]
	ds_load_b128 v[8:11], v88 offset:14848
	v_dot4_i32_iu8 v72, v20, v12, v72 neg_lo:[1,1,0]
	v_dot4_i32_iu8 v73, v20, v13, v73 neg_lo:[1,1,0]
	v_dot4_i32_iu8 v74, v20, v14, v74 neg_lo:[1,1,0]
	v_dot4_i32_iu8 v75, v20, v15, v75 neg_lo:[1,1,0]
	v_dot4_i32_iu8 v76, v21, v12, v76 neg_lo:[1,1,0]
	v_dot4_i32_iu8 v77, v21, v13, v77 neg_lo:[1,1,0]
	v_dot4_i32_iu8 v78, v21, v14, v78 neg_lo:[1,1,0]
	v_dot4_i32_iu8 v79, v21, v15, v79 neg_lo:[1,1,0]
	v_dot4_i32_iu8 v80, v22, v12, v80 neg_lo:[1,1,0]
	v_dot4_i32_iu8 v81, v22, v13, v81 neg_lo:[1,1,0]
	v_dot4_i32_iu8 v82, v22, v14, v82 neg_lo:[1,1,0]
	v_dot4_i32_iu8 v83, v22, v15, v83 neg_lo:[1,1,0]
	v_dot4_i32_iu8 v32, v23, v12, v32 neg_lo:[1,1,0]
	v_dot4_i32_iu8 v33, v23, v13, v33 neg_lo:[1,1,0]
	v_dot4_i32_iu8 v34, v23, v14, v34 neg_lo:[1,1,0]
	v_dot4_i32_iu8 v35, v23, v15, v35 neg_lo:[1,1,0]
	ds_load_b128 v[12:15], v89 offset:31232
	v_dot4_i32_iu8 v40, v20, v16, v40 neg_lo:[1,1,0]
	v_dot4_i32_iu8 v41, v20, v17, v41 neg_lo:[1,1,0]
	;; [unrolled: 1-line block ×15, first 2 shown]
	ds_load_b128 v[16:19], v89 offset:31488
	ds_load_b128 v[20:23], v88 offset:15104
	buffer_load_b32 v93, v87, s[28:31], null offen
	v_add_nc_u32_e32 v87, s0, v87
	s_wait_dscnt 0x2
	v_dot4_i32_iu8 v27, v8, v12, v27 neg_lo:[1,1,0]
	v_dot4_i32_iu8 v28, v8, v13, v28 neg_lo:[1,1,0]
	;; [unrolled: 1-line block ×16, first 2 shown]
	s_wait_dscnt 0x1
	v_dot4_i32_iu8 v56, v8, v16, v56 neg_lo:[1,1,0]
	v_dot4_i32_iu8 v57, v8, v17, v57 neg_lo:[1,1,0]
	;; [unrolled: 1-line block ×16, first 2 shown]
	ds_load_b128 v[8:11], v88 offset:15360
	s_wait_dscnt 0x1
	v_dot4_i32_iu8 v72, v20, v12, v72 neg_lo:[1,1,0]
	v_dot4_i32_iu8 v73, v20, v13, v73 neg_lo:[1,1,0]
	;; [unrolled: 1-line block ×16, first 2 shown]
	ds_load_b128 v[12:15], v89 offset:31744
	v_dot4_i32_iu8 v40, v20, v16, v40 neg_lo:[1,1,0]
	v_dot4_i32_iu8 v41, v20, v17, v41 neg_lo:[1,1,0]
	;; [unrolled: 1-line block ×16, first 2 shown]
	ds_load_b128 v[16:19], v89 offset:32000
	ds_load_b128 v[20:23], v88 offset:15616
	buffer_load_b32 v94, v87, s[28:31], null offen
	v_add_nc_u32_e32 v87, s1, v87
	s_wait_dscnt 0x2
	v_dot4_i32_iu8 v27, v8, v12, v27 neg_lo:[1,1,0]
	v_dot4_i32_iu8 v28, v8, v13, v28 neg_lo:[1,1,0]
	;; [unrolled: 1-line block ×4, first 2 shown]
	buffer_load_b32 v95, v87, s[28:31], null offen
	v_add_nc_u32_e32 v87, s0, v87
	v_dot4_i32_iu8 v31, v9, v12, v31 neg_lo:[1,1,0]
	v_dot4_i32_iu8 v38, v9, v13, v38 neg_lo:[1,1,0]
	;; [unrolled: 1-line block ×4, first 2 shown]
	buffer_load_b32 v96, v87, s[28:31], null offen
	v_add_nc_u32_e32 v87, s1, v87
	v_dot4_i32_iu8 v45, v10, v12, v45 neg_lo:[1,1,0]
	v_dot4_i32_iu8 v46, v10, v13, v46 neg_lo:[1,1,0]
	;; [unrolled: 1-line block ×4, first 2 shown]
	buffer_load_b32 v97, v87, s[28:31], null offen
	v_dot4_i32_iu8 v51, v11, v12, v51 neg_lo:[1,1,0]
	v_dot4_i32_iu8 v53, v11, v13, v53 neg_lo:[1,1,0]
	;; [unrolled: 1-line block ×4, first 2 shown]
	s_wait_dscnt 0x1
	v_dot4_i32_iu8 v56, v8, v16, v56 neg_lo:[1,1,0]
	v_dot4_i32_iu8 v57, v8, v17, v57 neg_lo:[1,1,0]
	;; [unrolled: 1-line block ×16, first 2 shown]
	ds_load_b128 v[8:11], v88 offset:15872
	s_wait_dscnt 0x1
	v_dot4_i32_iu8 v72, v20, v12, v72 neg_lo:[1,1,0]
	v_dot4_i32_iu8 v73, v20, v13, v73 neg_lo:[1,1,0]
	;; [unrolled: 1-line block ×16, first 2 shown]
	ds_load_b128 v[12:15], v89 offset:32256
	v_dot4_i32_iu8 v40, v20, v16, v40 neg_lo:[1,1,0]
	v_dot4_i32_iu8 v41, v20, v17, v41 neg_lo:[1,1,0]
	;; [unrolled: 1-line block ×16, first 2 shown]
	ds_load_b128 v[16:19], v89 offset:32512
	ds_load_b128 v[20:23], v88 offset:16128
	v_add_nc_u32_e32 v87, s0, v87
	s_wait_dscnt 0x2
	v_dot4_i32_iu8 v27, v8, v12, v27 neg_lo:[1,1,0]
	v_dot4_i32_iu8 v28, v8, v13, v28 neg_lo:[1,1,0]
	;; [unrolled: 1-line block ×3, first 2 shown]
	buffer_load_b32 v88, v87, s[28:31], null offen
	v_dot4_i32_iu8 v30, v8, v15, v30 neg_lo:[1,1,0]
	v_dot4_i32_iu8 v31, v9, v12, v31 neg_lo:[1,1,0]
	;; [unrolled: 1-line block ×12, first 2 shown]
	s_wait_dscnt 0x1
	v_dot4_i32_iu8 v56, v8, v16, v56 neg_lo:[1,1,0]
	v_dot4_i32_iu8 v57, v8, v17, v57 neg_lo:[1,1,0]
	;; [unrolled: 1-line block ×5, first 2 shown]
	v_add_nc_u32_e32 v60, s1, v87
	v_dot4_i32_iu8 v61, v9, v17, v61 neg_lo:[1,1,0]
	v_dot4_i32_iu8 v62, v9, v18, v62 neg_lo:[1,1,0]
	;; [unrolled: 1-line block ×4, first 2 shown]
	buffer_load_b32 v64, v60, s[28:31], null offen
	v_add_nc_u32_e32 v60, s0, v60
	v_cmp_gt_i32_e64 s1, s33, v0
	v_dot4_i32_iu8 v55, v11, v15, v55 neg_lo:[1,1,0]
	v_dot4_i32_iu8 v65, v10, v17, v65 neg_lo:[1,1,0]
	;; [unrolled: 1-line block ×3, first 2 shown]
	buffer_load_b32 v60, v60, s[28:31], null offen
	s_and_b32 s0, s1, vcc_lo
	v_dot4_i32_iu8 v10, v10, v19, v67 neg_lo:[1,1,0]
	v_dot4_i32_iu8 v67, v11, v16, v68 neg_lo:[1,1,0]
	;; [unrolled: 1-line block ×5, first 2 shown]
	s_wait_dscnt 0x0
	v_dot4_i32_iu8 v71, v20, v13, v73 neg_lo:[1,1,0]
	v_dot4_i32_iu8 v73, v20, v15, v75 neg_lo:[1,1,0]
	;; [unrolled: 1-line block ×9, first 2 shown]
	s_wait_loadcnt 0xf
	s_wait_alu 0xfffe
	v_cndmask_b32_e64 v2, 0, v2, s0
	v_dot4_i32_iu8 v70, v20, v12, v72 neg_lo:[1,1,0]
	v_dot4_i32_iu8 v72, v20, v14, v74 neg_lo:[1,1,0]
	;; [unrolled: 1-line block ×4, first 2 shown]
	v_lshrrev_b32_e32 v43, 8, v2
	v_dot4_i32_iu8 v78, v22, v12, v80 neg_lo:[1,1,0]
	v_dot4_i32_iu8 v80, v22, v14, v82 neg_lo:[1,1,0]
	;; [unrolled: 1-line block ×9, first 2 shown]
	v_add_nc_u32_e32 v26, 64, v1
	v_dot4_i32_iu8 v13, v23, v13, v33 neg_lo:[1,1,0]
	v_dot4_i32_iu8 v33, v20, v17, v41 neg_lo:[1,1,0]
	;; [unrolled: 1-line block ×6, first 2 shown]
	v_add_nc_u16 v24, v2, v27
	v_add_nc_u16 v25, v43, v28
	v_cmp_gt_i32_e64 s0, s36, v26
	v_dot4_i32_iu8 v20, v20, v19, v84 neg_lo:[1,1,0]
	v_dot4_i32_iu8 v21, v21, v19, v85 neg_lo:[1,1,0]
	;; [unrolled: 1-line block ×4, first 2 shown]
	v_bfe_i32 v23, v24, 0, 8
	v_bfe_i32 v24, v25, 0, 8
	v_lshrrev_b32_e32 v25, 16, v2
	v_lshrrev_b32_e32 v2, 24, v2
	s_and_b32 s1, s1, s0
	v_or_b32_e32 v28, 1, v0
	s_wait_loadcnt 0xe
	s_wait_alu 0xfffe
	v_cndmask_b32_e64 v3, 0, v3, s1
	v_add_nc_u16 v25, v25, v29
	v_add_nc_u16 v2, v2, v30
	v_max_i16 v23, v23, 0
	v_cmp_gt_i32_e64 s1, s33, v28
	v_lshrrev_b32_e32 v29, 8, v3
	v_add_nc_u16 v27, v3, v56
	v_bfe_i32 v2, v2, 0, 8
	v_max_i16 v24, v24, 0
	s_and_b32 s2, s1, vcc_lo
	s_and_b32 s1, s1, s0
	s_wait_loadcnt 0xd
	s_wait_alu 0xfffe
	v_cndmask_b32_e64 v4, 0, v4, s2
	v_max_i16 v30, v2, 0
	v_add_nc_u16 v2, v29, v57
	v_lshrrev_b32_e32 v29, 16, v3
	v_lshrrev_b32_e32 v3, 24, v3
	;; [unrolled: 1-line block ×3, first 2 shown]
	s_wait_loadcnt 0xc
	v_cndmask_b32_e64 v5, 0, v5, s1
	v_bfe_i32 v2, v2, 0, 8
	v_add_nc_u16 v29, v29, v58
	v_add_nc_u16 v3, v3, v8
	v_bfe_i32 v25, v25, 0, 8
	v_bfe_i32 v27, v27, 0, 8
	v_max_i16 v2, v2, 0
	v_bfe_i32 v8, v29, 0, 8
	v_add_nc_u16 v29, v4, v31
	v_add_nc_u16 v31, v43, v38
	v_and_b32_e32 v23, 0xffff, v23
	v_and_b32_e32 v38, 0xffff, v2
	v_bfe_i32 v2, v3, 0, 8
	v_max_i16 v3, v8, 0
	v_bfe_i32 v8, v29, 0, 8
	v_bfe_i32 v29, v31, 0, 8
	v_lshrrev_b32_e32 v31, 16, v4
	v_max_i16 v43, v2, 0
	v_lshrrev_b32_e32 v2, 24, v4
	v_max_i16 v4, v8, 0
	v_max_i16 v8, v29, 0
	v_add_nc_u16 v29, v31, v39
	v_or_b32_e32 v39, 2, v0
	v_add_nc_u16 v2, v2, v44
	v_lshrrev_b32_e32 v44, 8, v5
	v_add_nc_u16 v31, v5, v59
	v_and_b32_e32 v24, 0xffff, v24
	v_cmp_gt_i32_e64 s1, s33, v39
	v_bfe_i32 v2, v2, 0, 8
	v_max_i16 v25, v25, 0
	v_max_i16 v27, v27, 0
	v_bfe_i32 v31, v31, 0, 8
	s_and_b32 s2, s1, vcc_lo
	v_max_i16 v48, v2, 0
	v_add_nc_u16 v2, v44, v61
	v_lshrrev_b32_e32 v44, 16, v5
	s_wait_loadcnt 0xb
	s_wait_alu 0xfffe
	v_cndmask_b32_e64 v6, 0, v6, s2
	v_lshrrev_b32_e32 v5, 24, v5
	s_and_b32 s1, s1, s0
	v_bfe_i32 v2, v2, 0, 8
	v_add_nc_u16 v44, v44, v62
	v_lshrrev_b32_e32 v49, 8, v6
	v_add_nc_u16 v5, v5, v9
	s_wait_loadcnt 0xa
	s_wait_alu 0xfffe
	v_cndmask_b32_e64 v7, 0, v7, s1
	v_max_i16 v2, v2, 0
	v_bfe_i32 v9, v44, 0, 8
	v_add_nc_u16 v44, v6, v45
	v_add_nc_u16 v45, v49, v46
	v_and_b32_e32 v27, 0xffff, v27
	v_and_b32_e32 v46, 0xffff, v2
	v_bfe_i32 v2, v5, 0, 8
	v_max_i16 v5, v9, 0
	v_bfe_i32 v9, v44, 0, 8
	v_bfe_i32 v44, v45, 0, 8
	v_lshrrev_b32_e32 v45, 16, v6
	v_max_i16 v49, v2, 0
	v_lshrrev_b32_e32 v2, 24, v6
	v_max_i16 v6, v9, 0
	v_max_i16 v9, v44, 0
	v_add_nc_u16 v44, v45, v47
	v_or_b32_e32 v47, 3, v0
	v_add_nc_u16 v2, v2, v50
	v_lshrrev_b32_e32 v50, 8, v7
	v_add_nc_u16 v45, v7, v63
	v_max_i16 v31, v31, 0
	v_cmp_gt_i32_e64 s1, s33, v47
	v_bfe_i32 v2, v2, 0, 8
	v_bfe_i32 v29, v29, 0, 8
	;; [unrolled: 1-line block ×3, first 2 shown]
	v_and_b32_e32 v31, 0xffff, v31
	s_and_b32 s2, s1, vcc_lo
	v_max_i16 v52, v2, 0
	v_add_nc_u16 v2, v50, v65
	v_lshrrev_b32_e32 v50, 16, v7
	s_wait_loadcnt 0x9
	s_wait_alu 0xfffe
	v_cndmask_b32_e64 v56, 0, v91, s2
	v_lshrrev_b32_e32 v7, 24, v7
	s_and_b32 s1, s1, s0
	v_bfe_i32 v2, v2, 0, 8
	v_add_nc_u16 v50, v50, v66
	v_lshrrev_b32_e32 v57, 8, v56
	v_add_nc_u16 v7, v7, v10
	v_or_b32_e32 v66, 0x41, v0
	v_max_i16 v2, v2, 0
	v_bfe_i32 v10, v50, 0, 8
	v_add_nc_u16 v50, v56, v51
	v_add_nc_u16 v51, v57, v53
	v_bfe_i32 v45, v45, 0, 8
	v_and_b32_e32 v53, 0xffff, v2
	v_bfe_i32 v2, v7, 0, 8
	v_max_i16 v7, v10, 0
	v_bfe_i32 v10, v50, 0, 8
	v_bfe_i32 v50, v51, 0, 8
	v_lshrrev_b32_e32 v51, 16, v56
	v_max_i16 v57, v2, 0
	v_lshrrev_b32_e32 v2, 24, v56
	v_or_b32_e32 v56, 64, v0
	v_and_b32_e32 v4, 0xffff, v4
	v_add_nc_u16 v51, v51, v54
	s_wait_loadcnt 0x8
	s_wait_alu 0xfffe
	v_cndmask_b32_e64 v54, 0, v92, s1
	v_add_nc_u16 v2, v2, v55
	v_cmp_gt_i32_e64 s1, s33, v56
	v_and_b32_e32 v8, 0xffff, v8
	v_max_i16 v29, v29, 0
	v_lshrrev_b32_e32 v58, 8, v54
	v_bfe_i32 v2, v2, 0, 8
	s_and_b32 s2, s1, vcc_lo
	v_add_nc_u16 v55, v54, v67
	s_wait_loadcnt 0x7
	s_wait_alu 0xfffe
	v_cndmask_b32_e64 v61, 0, v93, s2
	s_and_b32 s1, s1, s0
	v_max_i16 v59, v2, 0
	v_add_nc_u16 v2, v58, v68
	v_lshrrev_b32_e32 v58, 16, v54
	v_lshrrev_b32_e32 v54, 24, v54
	;; [unrolled: 1-line block ×3, first 2 shown]
	v_and_b32_e32 v6, 0xffff, v6
	v_bfe_i32 v2, v2, 0, 8
	v_add_nc_u16 v58, v58, v69
	v_add_nc_u16 v11, v54, v11
	;; [unrolled: 1-line block ×3, first 2 shown]
	v_or_b32_e32 v71, 0x42, v0
	v_max_i16 v2, v2, 0
	v_bfe_i32 v54, v58, 0, 8
	v_add_nc_u16 v58, v61, v70
	v_and_b32_e32 v9, 0xffff, v9
	v_max_i16 v44, v44, 0
	v_and_b32_e32 v63, 0xffff, v2
	v_bfe_i32 v2, v11, 0, 8
	v_max_i16 v11, v54, 0
	v_bfe_i32 v54, v58, 0, 8
	v_bfe_i32 v58, v62, 0, 8
	v_lshrrev_b32_e32 v62, 16, v61
	v_max_i16 v65, v2, 0
	v_lshrrev_b32_e32 v2, 24, v61
	v_lshlrev_b32_e32 v5, 16, v5
	v_max_i16 v45, v45, 0
	v_add_nc_u16 v61, v62, v72
	v_bfe_i32 v55, v55, 0, 8
	v_add_nc_u16 v2, v2, v73
	v_lshl_or_b32 v4, v8, 8, v4
	v_lshlrev_b32_e32 v8, 16, v29
	v_lshl_or_b32 v6, v9, 8, v6
	v_lshlrev_b32_e32 v9, 16, v44
	v_bfe_i32 v2, v2, 0, 8
	v_and_b32_e32 v45, 0xffff, v45
	s_wait_loadcnt 0x6
	s_wait_alu 0xfffe
	v_cndmask_b32_e64 v62, 0, v94, s1
	v_cmp_gt_i32_e64 s1, s33, v66
	v_max_i16 v55, v55, 0
	v_max_i16 v68, v2, 0
	;; [unrolled: 1-line block ×3, first 2 shown]
	v_lshrrev_b32_e32 v67, 8, v62
	v_add_nc_u16 v32, v62, v32
	s_and_b32 s2, s1, vcc_lo
	s_and_b32 s1, s1, s0
	v_max_i16 v50, v50, 0
	v_add_nc_u16 v2, v67, v33
	v_lshrrev_b32_e32 v33, 16, v62
	v_lshrrev_b32_e32 v62, 24, v62
	s_wait_loadcnt 0x5
	s_wait_alu 0xfffe
	v_cndmask_b32_e64 v67, 0, v95, s2
	v_bfe_i32 v51, v51, 0, 8
	v_bfe_i32 v2, v2, 0, 8
	v_add_nc_u16 v33, v33, v34
	v_add_nc_u16 v20, v62, v20
	v_add_nc_u16 v62, v67, v74
	v_lshrrev_b32_e32 v34, 8, v67
	v_max_i16 v2, v2, 0
	v_bfe_i32 v33, v33, 0, 8
	v_and_b32_e32 v55, 0xffff, v55
	v_lshlrev_b32_e32 v7, 16, v7
	v_add_nc_u16 v34, v34, v75
	v_and_b32_e32 v69, 0xffff, v2
	v_bfe_i32 v2, v20, 0, 8
	v_max_i16 v20, v33, 0
	v_bfe_i32 v33, v62, 0, 8
	v_lshrrev_b32_e32 v62, 16, v67
	v_and_b32_e32 v10, 0xffff, v10
	v_max_i16 v70, v2, 0
	v_lshrrev_b32_e32 v2, 24, v67
	s_wait_loadcnt 0x4
	v_cndmask_b32_e64 v67, 0, v96, s1
	v_cmp_gt_i32_e64 s1, s33, v71
	v_add_nc_u16 v62, v62, v76
	v_and_b32_e32 v50, 0xffff, v50
	v_add_nc_u16 v2, v2, v77
	v_lshrrev_b32_e32 v72, 8, v67
	s_and_b32 s2, s1, vcc_lo
	v_add_nc_u16 v35, v67, v35
	s_and_b32 s1, s1, s0
	v_bfe_i32 v2, v2, 0, 8
	v_max_i16 v51, v51, 0
	v_lshl_or_b32 v10, v50, 8, v10
	v_bfe_i32 v34, v34, 0, 8
	v_max_i16 v33, v33, 0
	v_max_i16 v73, v2, 0
	v_add_nc_u16 v2, v72, v36
	v_lshrrev_b32_e32 v36, 16, v67
	s_wait_loadcnt 0x3
	s_wait_alu 0xfffe
	v_cndmask_b32_e64 v72, 0, v97, s2
	v_max_i16 v34, v34, 0
	v_bfe_i32 v62, v62, 0, 8
	v_bfe_i32 v2, v2, 0, 8
	v_add_nc_u16 v36, v36, v40
	v_lshrrev_b32_e32 v40, 24, v67
	v_lshrrev_b32_e32 v67, 8, v72
	v_and_b32_e32 v33, 0xffff, v33
	v_max_i16 v2, v2, 0
	v_and_b32_e32 v34, 0xffff, v34
	v_add_nc_u16 v21, v40, v21
	v_add_nc_u16 v40, v72, v78
	;; [unrolled: 1-line block ×3, first 2 shown]
	v_and_b32_e32 v74, 0xffff, v2
	v_or_b32_e32 v78, 0x43, v0
	v_bfe_i32 v2, v21, 0, 8
	v_bfe_i32 v21, v40, 0, 8
	;; [unrolled: 1-line block ×3, first 2 shown]
	v_lshrrev_b32_e32 v67, 16, v72
	v_lshrrev_b32_e32 v72, 24, v72
	v_max_i16 v75, v2, 0
	v_max_i16 v2, v21, 0
	v_max_i16 v21, v40, 0
	v_add_nc_u16 v40, v67, v80
	v_add_nc_u16 v67, v72, v81
	v_max_i16 v62, v62, 0
	v_and_b32_e32 v76, 0xffff, v2
	v_bfe_i32 v35, v35, 0, 8
	v_bfe_i32 v2, v40, 0, 8
	s_wait_loadcnt 0x2
	v_cndmask_b32_e64 v72, 0, v88, s1
	v_bfe_i32 v40, v67, 0, 8
	v_cmp_gt_i32_e64 s1, s33, v78
	v_bfe_i32 v32, v32, 0, 8
	v_max_i16 v77, v2, 0
	v_add_nc_u16 v37, v72, v37
	v_lshrrev_b32_e32 v67, 8, v72
	s_and_b32 vcc_lo, s1, vcc_lo
	v_max_i16 v35, v35, 0
	v_bfe_i32 v36, v36, 0, 8
	v_bfe_i32 v2, v37, 0, 8
	v_add_nc_u16 v37, v67, v41
	v_lshrrev_b32_e32 v41, 16, v72
	v_lshrrev_b32_e32 v67, 24, v72
	v_and_b32_e32 v21, 0xffff, v21
	v_max_i16 v2, v2, 0
	v_bfe_i32 v37, v37, 0, 8
	v_add_nc_u16 v41, v41, v42
	v_add_nc_u16 v22, v67, v22
	v_max_i16 v40, v40, 0
	v_max_i16 v32, v32, 0
	v_and_b32_e32 v35, 0xffff, v35
	v_max_i16 v36, v36, 0
	s_wait_loadcnt 0x1
	s_wait_alu 0xfffe
	v_cndmask_b32_e32 v42, 0, v64, vcc_lo
	v_and_b32_e32 v64, 0xffff, v2
	v_max_i16 v2, v37, 0
	v_bfe_i32 v37, v41, 0, 8
	s_and_b32 vcc_lo, s1, s0
	v_lshrrev_b32_e32 v41, 8, v42
	v_add_nc_u16 v12, v42, v12
	v_and_b32_e32 v67, 0xffff, v2
	v_cmp_gt_i32_e64 s0, s11, v0
	v_bfe_i32 v22, v22, 0, 8
	v_add_nc_u16 v2, v41, v13
	v_lshrrev_b32_e32 v13, 16, v42
	s_wait_loadcnt 0x0
	s_wait_alu 0xfffe
	v_cndmask_b32_e32 v41, 0, v60, vcc_lo
	v_cmp_gt_i32_e32 vcc_lo, s19, v1
	v_bfe_i32 v12, v12, 0, 8
	v_bfe_i32 v2, v2, 0, 8
	v_add_nc_u16 v13, v13, v14
	v_lshrrev_b32_e32 v14, 24, v42
	v_lshrrev_b32_e32 v42, 8, v41
	v_add_nc_u16 v16, v41, v16
	v_max_i16 v2, v2, 0
	s_and_b32 s1, s0, vcc_lo
	v_max_i16 v12, v12, 0
	v_add_nc_u16 v17, v42, v17
	v_bfe_i32 v13, v13, 0, 8
	v_and_b32_e32 v42, 0xffff, v2
	v_add_nc_u16 v2, v14, v15
	v_bfe_i32 v14, v16, 0, 8
	v_bfe_i32 v15, v17, 0, 8
	v_lshrrev_b32_e32 v17, 24, v41
	v_lshrrev_b32_e32 v16, 16, v41
	v_bfe_i32 v2, v2, 0, 8
	v_and_b32_e32 v12, 0xffff, v12
	v_max_i16 v13, v13, 0
	v_add_nc_u16 v17, v17, v19
	v_add_nc_u16 v16, v16, v18
	v_max_i16 v18, v2, 0
	v_mul_lo_u32 v2, v0, s34
	v_lshl_or_b32 v19, v24, 8, v23
	v_bfe_i32 v17, v17, 0, 8
	v_bfe_i32 v16, v16, 0, 8
	v_lshlrev_b32_e32 v23, 16, v25
	v_lshlrev_b32_e32 v24, 24, v30
	v_max_i16 v14, v14, 0
	v_max_i16 v15, v15, 0
	v_mad_co_u64_u32 v[0:1], null, v1, s35, v[2:3]
	v_max_i16 v2, v17, 0
	s_wait_alu 0xfffe
	v_cndmask_b32_e64 v17, 0x80000000, 0, s1
	v_cmp_gt_i32_e64 s1, s19, v26
	v_max_i16 v1, v16, 0
	v_or3_b32 v16, v19, v23, v24
	v_lshl_or_b32 v23, v38, 8, v27
	v_add_nc_u32_e32 v19, s3, v0
	s_and_b32 s0, s0, s1
	v_lshlrev_b32_e32 v3, 16, v3
	v_lshlrev_b32_e32 v24, 24, v43
	s_wait_alu 0xfffe
	v_cndmask_b32_e64 v25, 0x80000000, 0, s0
	v_cmp_gt_i32_e64 s0, s11, v28
	v_add_nc_u32_e32 v17, v17, v0
	s_mov_b32 s19, s27
	v_or3_b32 v3, v23, v3, v24
	v_add_nc_u32_e32 v23, v25, v19
	s_and_b32 s2, s0, s1
	s_clause 0x1
	buffer_store_b32 v16, v17, s[16:19], null offen
	buffer_store_b32 v3, v23, s[16:19], null offen
	v_cndmask_b32_e64 v16, 0x80000000, 0, s2
	v_cmp_gt_i32_e64 s2, s11, v39
	v_lshl_or_b32 v24, v46, 8, v31
	v_lshlrev_b32_e32 v25, 24, v49
	s_and_b32 s0, s0, vcc_lo
	v_add_nc_u32_e32 v3, s34, v19
	s_wait_alu 0xfffe
	v_cndmask_b32_e64 v19, 0x80000000, 0, s0
	s_and_b32 s0, s2, vcc_lo
	v_add_nc_u32_e32 v0, s34, v0
	v_lshlrev_b32_e32 v17, 24, v48
	v_or3_b32 v5, v24, v5, v25
	v_lshlrev_b32_e32 v23, 24, v52
	s_wait_alu 0xfffe
	v_cndmask_b32_e64 v24, 0x80000000, 0, s0
	v_add_nc_u32_e32 v16, v16, v3
	v_add_nc_u32_e32 v3, s34, v3
	s_and_b32 s0, s2, s1
	v_or3_b32 v4, v4, v8, v17
	v_add_nc_u32_e32 v8, v0, v19
	v_or3_b32 v6, v6, v9, v23
	v_add3_u32 v0, v24, s34, v0
	s_wait_alu 0xfffe
	v_cndmask_b32_e64 v19, 0x80000000, 0, s0
	v_cmp_gt_i32_e64 s0, s11, v47
	v_lshl_or_b32 v9, v53, 8, v45
	v_lshlrev_b32_e32 v17, 24, v57
	s_clause 0x2
	buffer_store_b32 v5, v16, s[16:19], null offen
	buffer_store_b32 v4, v8, s[16:19], null offen
	;; [unrolled: 1-line block ×3, first 2 shown]
	v_add_nc_u32_e32 v5, s34, v3
	s_and_b32 s2, s0, s1
	s_and_b32 s0, s0, vcc_lo
	v_or3_b32 v0, v9, v7, v17
	v_add_nc_u32_e32 v4, v3, v19
	v_lshl_or_b32 v6, v63, 8, v55
	v_lshlrev_b32_e32 v7, 16, v11
	v_lshlrev_b32_e32 v8, 24, v65
	s_wait_alu 0xfffe
	v_cndmask_b32_e64 v9, 0x80000000, 0, s2
	v_subrev_nc_u32_e32 v11, s3, v5
	v_lshlrev_b32_e32 v16, 16, v51
	v_lshlrev_b32_e32 v17, 24, v59
	v_cndmask_b32_e64 v19, 0x80000000, 0, s0
	v_cmp_gt_i32_e64 s0, s11, v78
	buffer_store_b32 v0, v4, s[16:19], null offen
	v_or3_b32 v0, v6, v7, v8
	v_add_nc_u32_e32 v4, v5, v9
	v_or3_b32 v6, v10, v16, v17
	v_add_nc_u32_e32 v7, v11, v19
	s_and_b32 s4, s0, vcc_lo
	s_and_b32 s0, s0, s1
	s_clause 0x1
	buffer_store_b32 v0, v4, s[16:19], null offen
	buffer_store_b32 v6, v7, s[16:19], null offen
	v_cndmask_b32_e64 v7, 0x80000000, 0, s0
	v_cmp_ge_i32_e64 s0, s11, v78
	v_max_i16 v37, v37, 0
	v_max_i16 v22, v22, 0
	v_and_b32_e32 v14, 0xffff, v14
	v_and_b32_e32 v15, 0xffff, v15
	v_lshl_or_b32 v8, v42, 8, v12
	v_lshlrev_b32_e32 v9, 16, v13
	v_lshlrev_b32_e32 v10, 24, v18
	s_and_b32 s0, s0, s1
	v_lshl_or_b32 v6, v15, 8, v14
	s_wait_alu 0xfffe
	v_cndmask_b32_e64 v12, 0x80000000, 0, s0
	v_cmp_gt_i32_e64 s0, s11, v71
	v_or3_b32 v0, v8, v9, v10
	v_lshlrev_b32_e32 v1, 16, v1
	v_lshlrev_b32_e32 v2, 24, v2
	v_lshl_or_b32 v8, v67, 8, v64
	v_lshlrev_b32_e32 v9, 16, v37
	v_lshlrev_b32_e32 v10, 24, v22
	s_lshl_b32 s2, s34, 6
	v_cndmask_b32_e64 v4, 0x80000000, 0, s4
	s_and_b32 s0, s0, vcc_lo
	s_wait_alu 0xfffe
	v_add_nc_u32_e32 v3, s2, v3
	v_or3_b32 v1, v6, v1, v2
	v_add3_u32 v2, v5, s2, v7
	v_or3_b32 v5, v8, v9, v10
	v_cndmask_b32_e64 v10, 0x80000000, 0, s0
	v_cmp_ge_i32_e64 s0, s11, v71
	v_add3_u32 v4, v4, s2, v11
	v_add_nc_u32_e32 v6, v3, v12
	v_subrev_nc_u32_e32 v3, s3, v3
	s_clause 0x2
	buffer_store_b32 v0, v4, s[16:19], null offen
	buffer_store_b32 v1, v2, s[16:19], null offen
	buffer_store_b32 v5, v6, s[16:19], null offen
	s_and_b32 s0, s0, vcc_lo
	v_add_nc_u32_e32 v1, v3, v10
	s_wait_alu 0xfffe
	v_cndmask_b32_e64 v6, 0x80000000, 0, s0
	v_cmp_gt_i32_e64 s0, s11, v66
	v_subrev_nc_u32_e32 v2, s34, v3
	v_lshl_or_b32 v3, v34, 8, v33
	v_lshlrev_b32_e32 v4, 16, v62
	v_lshlrev_b32_e32 v5, 24, v73
	s_and_b32 s0, s0, s1
	v_lshl_or_b32 v7, v21, 8, v76
	v_lshlrev_b32_e32 v8, 16, v77
	v_lshlrev_b32_e32 v9, 24, v40
	v_or3_b32 v3, v3, v4, v5
	v_add_nc_u32_e32 v4, s3, v2
	v_add_nc_u32_e32 v2, v2, v6
	s_wait_alu 0xfffe
	v_cndmask_b32_e64 v6, 0x80000000, 0, s0
	v_cmp_gt_i32_e64 s0, s11, v56
	v_max_i16 v54, v54, 0
	v_max_i16 v58, v58, 0
	v_bfe_i32 v61, v61, 0, 8
	v_cmp_ge_i32_e64 s2, s11, v66
	s_and_b32 s0, s0, vcc_lo
	v_and_b32_e32 v32, 0xffff, v32
	v_or3_b32 v0, v7, v8, v9
	v_lshl_or_b32 v7, v74, 8, v35
	v_lshlrev_b32_e32 v8, 16, v36
	v_lshlrev_b32_e32 v9, 24, v75
	v_and_b32_e32 v54, 0xffff, v54
	v_and_b32_e32 v58, 0xffff, v58
	v_max_i16 v61, v61, 0
	s_wait_alu 0xfffe
	v_cndmask_b32_e64 v11, 0x80000000, 0, s0
	s_and_b32 s0, s2, s1
	v_or3_b32 v5, v7, v8, v9
	v_subrev_nc_u32_e32 v7, s34, v4
	v_lshl_or_b32 v8, v69, 8, v32
	v_lshlrev_b32_e32 v9, 16, v20
	v_lshlrev_b32_e32 v10, 24, v70
	s_wait_alu 0xfffe
	v_cndmask_b32_e64 v12, 0x80000000, 0, s0
	v_lshl_or_b32 v13, v58, 8, v54
	v_lshlrev_b32_e32 v14, 16, v61
	v_lshlrev_b32_e32 v15, 24, v68
	v_subrev_nc_u32_e32 v11, s3, v11
	v_add_nc_u32_e32 v4, v4, v6
	v_or3_b32 v6, v8, v9, v10
	v_add_nc_u32_e32 v8, v7, v12
	v_or3_b32 v9, v13, v14, v15
	v_add_nc_u32_e32 v7, v11, v7
	s_clause 0x4
	buffer_store_b32 v0, v1, s[16:19], null offen
	buffer_store_b32 v3, v2, s[16:19], null offen
	buffer_store_b32 v5, v4, s[16:19], null offen
	buffer_store_b32 v6, v8, s[16:19], null offen
	buffer_store_b32 v9, v7, s[16:19], null offen
	s_nop 0
	s_sendmsg sendmsg(MSG_DEALLOC_VGPRS)
	s_endpgm
	.section	.rodata,"a",@progbits
	.p2align	6, 0x0
	.amdhsa_kernel _ZN2ck16tensor_operation6device12_GLOBAL__N_137kernel_grouped_conv_fwd_dl_multiple_dINS_32GridwiseGemmDlMultipleD_km_kn_mnILi256EaiNS_5TupleIJaEEEaNS0_12element_wise11PassThroughES8_NS7_7AddReluELNS_25InMemoryDataOperationEnumE0ENS_16TensorDescriptorINS5_IJNS_5EmbedINS5_IJiiiiiEEESD_Lb0EEENS_11PassThroughIiEENS_3PadIiiiLb0EEESI_SI_SG_SG_NSC_INS5_IJiiEEESJ_Lb0EEESK_SK_SG_NS_23Merge_v2_magic_divisionINS5_IJiiiiEEEEESN_NS_8RightPadIiiLb0EEESP_NS_7UnMergeISJ_Lb0EEESG_EEENS5_IJNS_8SequenceIJLi0EEEENST_IJLi1EEEENST_IJLi2EEEENST_IJLi3EEEENST_IJLi4EEEENST_IJLi5EEEENST_IJLi6EEEENST_IJLi7EEEENST_IJLi8EEEENST_IJLi9EEEENST_IJLi10EEEENST_IJLi11ELi13ELi15ELi17EEEENST_IJLi12ELi14ELi16ELi18EEEENST_IJLi19EEEENST_IJLi20EEEENST_IJLi22EEEENST_IJLi21EEEEEEENS5_IJNST_IJLi1ELi2ELi3ELi4ELi5EEEES10_S11_S12_S13_S14_NST_IJLi11EEEENST_IJLi12ELi13EEEENST_IJLi14ELi15EEEENST_IJLi16ELi17EEEENST_IJLi18EEEES17_S18_S1A_S19_NST_IJLi23ELi24EEEENST_IJLi25EEEEEEENST_IJLi23ELi25ELi24EEEElEENSB_INS5_IJSR_SP_SP_SR_SG_EEENS5_IJSU_SV_SW_SY_SX_EEENS5_IJNST_IJLi1ELi2EEEESX_SY_NST_IJLi5ELi6EEEES11_EEENST_IJLi5ELi7ELi6EEEElEENSB_INS5_IJSK_SP_SP_EEENS5_IJSU_SV_SW_EEENS5_IJS1P_SX_SY_EEENST_IJLi3ELi4EEEElEELi128ELi128ELi16ELi4ELi4ELi4ELi1ENST_IJLi8ELi2EEEES1Z_NST_IJLi8ELi1ELi1ELi4EEEENST_IJLi2ELi1ELi128ELi1EEEENST_IJLi1ELi2ELi0ELi3EEEES22_NST_IJLi4ELi1ELi1ELi4EEEES22_NST_IJLi1ELi1ELi1ELi4EEEES20_S21_S22_S22_S23_S22_S24_NST_IJLi0ELi1ELi2ELi3ELi4ELi5EEEELi5ELi4EEEaNS5_IJPKaEEEaS8_S8_S9_NSB_INS5_IJSE_SG_SI_SI_SI_SG_SG_SK_SK_SK_SG_SN_SN_SP_SP_SR_SG_SG_NSQ_INS5_IJiNS_17integral_constantIiLi128EEEEEELb0EEENSF_INS2A_IiLi4EEEEEEEENS5_IJSU_SV_SW_SX_SY_SZ_S10_S11_S12_S13_S14_S15_S16_S17_S18_S19_S1A_NST_IJLi23EEEES1J_NST_IJLi24EEEEEEENS5_IJS1C_S10_S11_S12_S13_S14_S1D_S1E_S1F_S1G_S1H_S17_S18_S1A_S19_S1I_S1J_NST_IJLi26EEEENST_IJLi27ELi28EEEENST_IJLi29EEEEEEENST_IJLi26ELi27ELi28ELi29EEEElEENSB_INS5_IJSR_SP_SP_SR_SG_SG_S2D_S2F_EEENS5_IJSU_SV_SW_SY_SX_SZ_S11_S10_EEENS5_IJS1P_SX_SY_S1Q_S11_S12_NST_IJLi9ELi10EEEES1D_EEENST_IJLi8ELi9ELi10ELi11EEEElEENS5_IJNSB_INS5_IJSK_SP_SP_NSQ_INS5_IJiNS2A_IiLi2EEENS2A_IiLi64EEEEEELb0EEES2Z_EEENS5_IJSU_SV_SW_SX_SY_EEENS5_IJS1P_SX_SY_NST_IJLi5ELi6ELi7EEEENST_IJLi8ELi9ELi10EEEEEEENST_IJLi5ELi6ELi7ELi8ELi9ELi10EEEElEEEEES36_NS_31BlockToCTileMap_M00_N00_M01_N01ILi128ELi128ES1Y_Lb0EEENS1_30ComputePtrOffsetOfStridedBatchILi1ELi1ELi1EvEELb0ELb1EEEvPKT0_S3E_T1_PT2_T3_T4_T5_iT6_T7_T8_T9_T10_T11_
		.amdhsa_group_segment_fixed_size 32768
		.amdhsa_private_segment_fixed_size 0
		.amdhsa_kernarg_size 1024
		.amdhsa_user_sgpr_count 2
		.amdhsa_user_sgpr_dispatch_ptr 0
		.amdhsa_user_sgpr_queue_ptr 0
		.amdhsa_user_sgpr_kernarg_segment_ptr 1
		.amdhsa_user_sgpr_dispatch_id 0
		.amdhsa_user_sgpr_private_segment_size 0
		.amdhsa_wavefront_size32 1
		.amdhsa_uses_dynamic_stack 0
		.amdhsa_enable_private_segment 0
		.amdhsa_system_sgpr_workgroup_id_x 1
		.amdhsa_system_sgpr_workgroup_id_y 0
		.amdhsa_system_sgpr_workgroup_id_z 0
		.amdhsa_system_sgpr_workgroup_info 0
		.amdhsa_system_vgpr_workitem_id 0
		.amdhsa_next_free_vgpr 189
		.amdhsa_next_free_sgpr 82
		.amdhsa_reserve_vcc 1
		.amdhsa_float_round_mode_32 0
		.amdhsa_float_round_mode_16_64 0
		.amdhsa_float_denorm_mode_32 3
		.amdhsa_float_denorm_mode_16_64 3
		.amdhsa_fp16_overflow 0
		.amdhsa_workgroup_processor_mode 1
		.amdhsa_memory_ordered 1
		.amdhsa_forward_progress 1
		.amdhsa_inst_pref_size 192
		.amdhsa_round_robin_scheduling 0
		.amdhsa_exception_fp_ieee_invalid_op 0
		.amdhsa_exception_fp_denorm_src 0
		.amdhsa_exception_fp_ieee_div_zero 0
		.amdhsa_exception_fp_ieee_overflow 0
		.amdhsa_exception_fp_ieee_underflow 0
		.amdhsa_exception_fp_ieee_inexact 0
		.amdhsa_exception_int_div_zero 0
	.end_amdhsa_kernel
	.section	.text._ZN2ck16tensor_operation6device12_GLOBAL__N_137kernel_grouped_conv_fwd_dl_multiple_dINS_32GridwiseGemmDlMultipleD_km_kn_mnILi256EaiNS_5TupleIJaEEEaNS0_12element_wise11PassThroughES8_NS7_7AddReluELNS_25InMemoryDataOperationEnumE0ENS_16TensorDescriptorINS5_IJNS_5EmbedINS5_IJiiiiiEEESD_Lb0EEENS_11PassThroughIiEENS_3PadIiiiLb0EEESI_SI_SG_SG_NSC_INS5_IJiiEEESJ_Lb0EEESK_SK_SG_NS_23Merge_v2_magic_divisionINS5_IJiiiiEEEEESN_NS_8RightPadIiiLb0EEESP_NS_7UnMergeISJ_Lb0EEESG_EEENS5_IJNS_8SequenceIJLi0EEEENST_IJLi1EEEENST_IJLi2EEEENST_IJLi3EEEENST_IJLi4EEEENST_IJLi5EEEENST_IJLi6EEEENST_IJLi7EEEENST_IJLi8EEEENST_IJLi9EEEENST_IJLi10EEEENST_IJLi11ELi13ELi15ELi17EEEENST_IJLi12ELi14ELi16ELi18EEEENST_IJLi19EEEENST_IJLi20EEEENST_IJLi22EEEENST_IJLi21EEEEEEENS5_IJNST_IJLi1ELi2ELi3ELi4ELi5EEEES10_S11_S12_S13_S14_NST_IJLi11EEEENST_IJLi12ELi13EEEENST_IJLi14ELi15EEEENST_IJLi16ELi17EEEENST_IJLi18EEEES17_S18_S1A_S19_NST_IJLi23ELi24EEEENST_IJLi25EEEEEEENST_IJLi23ELi25ELi24EEEElEENSB_INS5_IJSR_SP_SP_SR_SG_EEENS5_IJSU_SV_SW_SY_SX_EEENS5_IJNST_IJLi1ELi2EEEESX_SY_NST_IJLi5ELi6EEEES11_EEENST_IJLi5ELi7ELi6EEEElEENSB_INS5_IJSK_SP_SP_EEENS5_IJSU_SV_SW_EEENS5_IJS1P_SX_SY_EEENST_IJLi3ELi4EEEElEELi128ELi128ELi16ELi4ELi4ELi4ELi1ENST_IJLi8ELi2EEEES1Z_NST_IJLi8ELi1ELi1ELi4EEEENST_IJLi2ELi1ELi128ELi1EEEENST_IJLi1ELi2ELi0ELi3EEEES22_NST_IJLi4ELi1ELi1ELi4EEEES22_NST_IJLi1ELi1ELi1ELi4EEEES20_S21_S22_S22_S23_S22_S24_NST_IJLi0ELi1ELi2ELi3ELi4ELi5EEEELi5ELi4EEEaNS5_IJPKaEEEaS8_S8_S9_NSB_INS5_IJSE_SG_SI_SI_SI_SG_SG_SK_SK_SK_SG_SN_SN_SP_SP_SR_SG_SG_NSQ_INS5_IJiNS_17integral_constantIiLi128EEEEEELb0EEENSF_INS2A_IiLi4EEEEEEEENS5_IJSU_SV_SW_SX_SY_SZ_S10_S11_S12_S13_S14_S15_S16_S17_S18_S19_S1A_NST_IJLi23EEEES1J_NST_IJLi24EEEEEEENS5_IJS1C_S10_S11_S12_S13_S14_S1D_S1E_S1F_S1G_S1H_S17_S18_S1A_S19_S1I_S1J_NST_IJLi26EEEENST_IJLi27ELi28EEEENST_IJLi29EEEEEEENST_IJLi26ELi27ELi28ELi29EEEElEENSB_INS5_IJSR_SP_SP_SR_SG_SG_S2D_S2F_EEENS5_IJSU_SV_SW_SY_SX_SZ_S11_S10_EEENS5_IJS1P_SX_SY_S1Q_S11_S12_NST_IJLi9ELi10EEEES1D_EEENST_IJLi8ELi9ELi10ELi11EEEElEENS5_IJNSB_INS5_IJSK_SP_SP_NSQ_INS5_IJiNS2A_IiLi2EEENS2A_IiLi64EEEEEELb0EEES2Z_EEENS5_IJSU_SV_SW_SX_SY_EEENS5_IJS1P_SX_SY_NST_IJLi5ELi6ELi7EEEENST_IJLi8ELi9ELi10EEEEEEENST_IJLi5ELi6ELi7ELi8ELi9ELi10EEEElEEEEES36_NS_31BlockToCTileMap_M00_N00_M01_N01ILi128ELi128ES1Y_Lb0EEENS1_30ComputePtrOffsetOfStridedBatchILi1ELi1ELi1EvEELb0ELb1EEEvPKT0_S3E_T1_PT2_T3_T4_T5_iT6_T7_T8_T9_T10_T11_,"axG",@progbits,_ZN2ck16tensor_operation6device12_GLOBAL__N_137kernel_grouped_conv_fwd_dl_multiple_dINS_32GridwiseGemmDlMultipleD_km_kn_mnILi256EaiNS_5TupleIJaEEEaNS0_12element_wise11PassThroughES8_NS7_7AddReluELNS_25InMemoryDataOperationEnumE0ENS_16TensorDescriptorINS5_IJNS_5EmbedINS5_IJiiiiiEEESD_Lb0EEENS_11PassThroughIiEENS_3PadIiiiLb0EEESI_SI_SG_SG_NSC_INS5_IJiiEEESJ_Lb0EEESK_SK_SG_NS_23Merge_v2_magic_divisionINS5_IJiiiiEEEEESN_NS_8RightPadIiiLb0EEESP_NS_7UnMergeISJ_Lb0EEESG_EEENS5_IJNS_8SequenceIJLi0EEEENST_IJLi1EEEENST_IJLi2EEEENST_IJLi3EEEENST_IJLi4EEEENST_IJLi5EEEENST_IJLi6EEEENST_IJLi7EEEENST_IJLi8EEEENST_IJLi9EEEENST_IJLi10EEEENST_IJLi11ELi13ELi15ELi17EEEENST_IJLi12ELi14ELi16ELi18EEEENST_IJLi19EEEENST_IJLi20EEEENST_IJLi22EEEENST_IJLi21EEEEEEENS5_IJNST_IJLi1ELi2ELi3ELi4ELi5EEEES10_S11_S12_S13_S14_NST_IJLi11EEEENST_IJLi12ELi13EEEENST_IJLi14ELi15EEEENST_IJLi16ELi17EEEENST_IJLi18EEEES17_S18_S1A_S19_NST_IJLi23ELi24EEEENST_IJLi25EEEEEEENST_IJLi23ELi25ELi24EEEElEENSB_INS5_IJSR_SP_SP_SR_SG_EEENS5_IJSU_SV_SW_SY_SX_EEENS5_IJNST_IJLi1ELi2EEEESX_SY_NST_IJLi5ELi6EEEES11_EEENST_IJLi5ELi7ELi6EEEElEENSB_INS5_IJSK_SP_SP_EEENS5_IJSU_SV_SW_EEENS5_IJS1P_SX_SY_EEENST_IJLi3ELi4EEEElEELi128ELi128ELi16ELi4ELi4ELi4ELi1ENST_IJLi8ELi2EEEES1Z_NST_IJLi8ELi1ELi1ELi4EEEENST_IJLi2ELi1ELi128ELi1EEEENST_IJLi1ELi2ELi0ELi3EEEES22_NST_IJLi4ELi1ELi1ELi4EEEES22_NST_IJLi1ELi1ELi1ELi4EEEES20_S21_S22_S22_S23_S22_S24_NST_IJLi0ELi1ELi2ELi3ELi4ELi5EEEELi5ELi4EEEaNS5_IJPKaEEEaS8_S8_S9_NSB_INS5_IJSE_SG_SI_SI_SI_SG_SG_SK_SK_SK_SG_SN_SN_SP_SP_SR_SG_SG_NSQ_INS5_IJiNS_17integral_constantIiLi128EEEEEELb0EEENSF_INS2A_IiLi4EEEEEEEENS5_IJSU_SV_SW_SX_SY_SZ_S10_S11_S12_S13_S14_S15_S16_S17_S18_S19_S1A_NST_IJLi23EEEES1J_NST_IJLi24EEEEEEENS5_IJS1C_S10_S11_S12_S13_S14_S1D_S1E_S1F_S1G_S1H_S17_S18_S1A_S19_S1I_S1J_NST_IJLi26EEEENST_IJLi27ELi28EEEENST_IJLi29EEEEEEENST_IJLi26ELi27ELi28ELi29EEEElEENSB_INS5_IJSR_SP_SP_SR_SG_SG_S2D_S2F_EEENS5_IJSU_SV_SW_SY_SX_SZ_S11_S10_EEENS5_IJS1P_SX_SY_S1Q_S11_S12_NST_IJLi9ELi10EEEES1D_EEENST_IJLi8ELi9ELi10ELi11EEEElEENS5_IJNSB_INS5_IJSK_SP_SP_NSQ_INS5_IJiNS2A_IiLi2EEENS2A_IiLi64EEEEEELb0EEES2Z_EEENS5_IJSU_SV_SW_SX_SY_EEENS5_IJS1P_SX_SY_NST_IJLi5ELi6ELi7EEEENST_IJLi8ELi9ELi10EEEEEEENST_IJLi5ELi6ELi7ELi8ELi9ELi10EEEElEEEEES36_NS_31BlockToCTileMap_M00_N00_M01_N01ILi128ELi128ES1Y_Lb0EEENS1_30ComputePtrOffsetOfStridedBatchILi1ELi1ELi1EvEELb0ELb1EEEvPKT0_S3E_T1_PT2_T3_T4_T5_iT6_T7_T8_T9_T10_T11_,comdat
.Lfunc_end11:
	.size	_ZN2ck16tensor_operation6device12_GLOBAL__N_137kernel_grouped_conv_fwd_dl_multiple_dINS_32GridwiseGemmDlMultipleD_km_kn_mnILi256EaiNS_5TupleIJaEEEaNS0_12element_wise11PassThroughES8_NS7_7AddReluELNS_25InMemoryDataOperationEnumE0ENS_16TensorDescriptorINS5_IJNS_5EmbedINS5_IJiiiiiEEESD_Lb0EEENS_11PassThroughIiEENS_3PadIiiiLb0EEESI_SI_SG_SG_NSC_INS5_IJiiEEESJ_Lb0EEESK_SK_SG_NS_23Merge_v2_magic_divisionINS5_IJiiiiEEEEESN_NS_8RightPadIiiLb0EEESP_NS_7UnMergeISJ_Lb0EEESG_EEENS5_IJNS_8SequenceIJLi0EEEENST_IJLi1EEEENST_IJLi2EEEENST_IJLi3EEEENST_IJLi4EEEENST_IJLi5EEEENST_IJLi6EEEENST_IJLi7EEEENST_IJLi8EEEENST_IJLi9EEEENST_IJLi10EEEENST_IJLi11ELi13ELi15ELi17EEEENST_IJLi12ELi14ELi16ELi18EEEENST_IJLi19EEEENST_IJLi20EEEENST_IJLi22EEEENST_IJLi21EEEEEEENS5_IJNST_IJLi1ELi2ELi3ELi4ELi5EEEES10_S11_S12_S13_S14_NST_IJLi11EEEENST_IJLi12ELi13EEEENST_IJLi14ELi15EEEENST_IJLi16ELi17EEEENST_IJLi18EEEES17_S18_S1A_S19_NST_IJLi23ELi24EEEENST_IJLi25EEEEEEENST_IJLi23ELi25ELi24EEEElEENSB_INS5_IJSR_SP_SP_SR_SG_EEENS5_IJSU_SV_SW_SY_SX_EEENS5_IJNST_IJLi1ELi2EEEESX_SY_NST_IJLi5ELi6EEEES11_EEENST_IJLi5ELi7ELi6EEEElEENSB_INS5_IJSK_SP_SP_EEENS5_IJSU_SV_SW_EEENS5_IJS1P_SX_SY_EEENST_IJLi3ELi4EEEElEELi128ELi128ELi16ELi4ELi4ELi4ELi1ENST_IJLi8ELi2EEEES1Z_NST_IJLi8ELi1ELi1ELi4EEEENST_IJLi2ELi1ELi128ELi1EEEENST_IJLi1ELi2ELi0ELi3EEEES22_NST_IJLi4ELi1ELi1ELi4EEEES22_NST_IJLi1ELi1ELi1ELi4EEEES20_S21_S22_S22_S23_S22_S24_NST_IJLi0ELi1ELi2ELi3ELi4ELi5EEEELi5ELi4EEEaNS5_IJPKaEEEaS8_S8_S9_NSB_INS5_IJSE_SG_SI_SI_SI_SG_SG_SK_SK_SK_SG_SN_SN_SP_SP_SR_SG_SG_NSQ_INS5_IJiNS_17integral_constantIiLi128EEEEEELb0EEENSF_INS2A_IiLi4EEEEEEEENS5_IJSU_SV_SW_SX_SY_SZ_S10_S11_S12_S13_S14_S15_S16_S17_S18_S19_S1A_NST_IJLi23EEEES1J_NST_IJLi24EEEEEEENS5_IJS1C_S10_S11_S12_S13_S14_S1D_S1E_S1F_S1G_S1H_S17_S18_S1A_S19_S1I_S1J_NST_IJLi26EEEENST_IJLi27ELi28EEEENST_IJLi29EEEEEEENST_IJLi26ELi27ELi28ELi29EEEElEENSB_INS5_IJSR_SP_SP_SR_SG_SG_S2D_S2F_EEENS5_IJSU_SV_SW_SY_SX_SZ_S11_S10_EEENS5_IJS1P_SX_SY_S1Q_S11_S12_NST_IJLi9ELi10EEEES1D_EEENST_IJLi8ELi9ELi10ELi11EEEElEENS5_IJNSB_INS5_IJSK_SP_SP_NSQ_INS5_IJiNS2A_IiLi2EEENS2A_IiLi64EEEEEELb0EEES2Z_EEENS5_IJSU_SV_SW_SX_SY_EEENS5_IJS1P_SX_SY_NST_IJLi5ELi6ELi7EEEENST_IJLi8ELi9ELi10EEEEEEENST_IJLi5ELi6ELi7ELi8ELi9ELi10EEEElEEEEES36_NS_31BlockToCTileMap_M00_N00_M01_N01ILi128ELi128ES1Y_Lb0EEENS1_30ComputePtrOffsetOfStridedBatchILi1ELi1ELi1EvEELb0ELb1EEEvPKT0_S3E_T1_PT2_T3_T4_T5_iT6_T7_T8_T9_T10_T11_, .Lfunc_end11-_ZN2ck16tensor_operation6device12_GLOBAL__N_137kernel_grouped_conv_fwd_dl_multiple_dINS_32GridwiseGemmDlMultipleD_km_kn_mnILi256EaiNS_5TupleIJaEEEaNS0_12element_wise11PassThroughES8_NS7_7AddReluELNS_25InMemoryDataOperationEnumE0ENS_16TensorDescriptorINS5_IJNS_5EmbedINS5_IJiiiiiEEESD_Lb0EEENS_11PassThroughIiEENS_3PadIiiiLb0EEESI_SI_SG_SG_NSC_INS5_IJiiEEESJ_Lb0EEESK_SK_SG_NS_23Merge_v2_magic_divisionINS5_IJiiiiEEEEESN_NS_8RightPadIiiLb0EEESP_NS_7UnMergeISJ_Lb0EEESG_EEENS5_IJNS_8SequenceIJLi0EEEENST_IJLi1EEEENST_IJLi2EEEENST_IJLi3EEEENST_IJLi4EEEENST_IJLi5EEEENST_IJLi6EEEENST_IJLi7EEEENST_IJLi8EEEENST_IJLi9EEEENST_IJLi10EEEENST_IJLi11ELi13ELi15ELi17EEEENST_IJLi12ELi14ELi16ELi18EEEENST_IJLi19EEEENST_IJLi20EEEENST_IJLi22EEEENST_IJLi21EEEEEEENS5_IJNST_IJLi1ELi2ELi3ELi4ELi5EEEES10_S11_S12_S13_S14_NST_IJLi11EEEENST_IJLi12ELi13EEEENST_IJLi14ELi15EEEENST_IJLi16ELi17EEEENST_IJLi18EEEES17_S18_S1A_S19_NST_IJLi23ELi24EEEENST_IJLi25EEEEEEENST_IJLi23ELi25ELi24EEEElEENSB_INS5_IJSR_SP_SP_SR_SG_EEENS5_IJSU_SV_SW_SY_SX_EEENS5_IJNST_IJLi1ELi2EEEESX_SY_NST_IJLi5ELi6EEEES11_EEENST_IJLi5ELi7ELi6EEEElEENSB_INS5_IJSK_SP_SP_EEENS5_IJSU_SV_SW_EEENS5_IJS1P_SX_SY_EEENST_IJLi3ELi4EEEElEELi128ELi128ELi16ELi4ELi4ELi4ELi1ENST_IJLi8ELi2EEEES1Z_NST_IJLi8ELi1ELi1ELi4EEEENST_IJLi2ELi1ELi128ELi1EEEENST_IJLi1ELi2ELi0ELi3EEEES22_NST_IJLi4ELi1ELi1ELi4EEEES22_NST_IJLi1ELi1ELi1ELi4EEEES20_S21_S22_S22_S23_S22_S24_NST_IJLi0ELi1ELi2ELi3ELi4ELi5EEEELi5ELi4EEEaNS5_IJPKaEEEaS8_S8_S9_NSB_INS5_IJSE_SG_SI_SI_SI_SG_SG_SK_SK_SK_SG_SN_SN_SP_SP_SR_SG_SG_NSQ_INS5_IJiNS_17integral_constantIiLi128EEEEEELb0EEENSF_INS2A_IiLi4EEEEEEEENS5_IJSU_SV_SW_SX_SY_SZ_S10_S11_S12_S13_S14_S15_S16_S17_S18_S19_S1A_NST_IJLi23EEEES1J_NST_IJLi24EEEEEEENS5_IJS1C_S10_S11_S12_S13_S14_S1D_S1E_S1F_S1G_S1H_S17_S18_S1A_S19_S1I_S1J_NST_IJLi26EEEENST_IJLi27ELi28EEEENST_IJLi29EEEEEEENST_IJLi26ELi27ELi28ELi29EEEElEENSB_INS5_IJSR_SP_SP_SR_SG_SG_S2D_S2F_EEENS5_IJSU_SV_SW_SY_SX_SZ_S11_S10_EEENS5_IJS1P_SX_SY_S1Q_S11_S12_NST_IJLi9ELi10EEEES1D_EEENST_IJLi8ELi9ELi10ELi11EEEElEENS5_IJNSB_INS5_IJSK_SP_SP_NSQ_INS5_IJiNS2A_IiLi2EEENS2A_IiLi64EEEEEELb0EEES2Z_EEENS5_IJSU_SV_SW_SX_SY_EEENS5_IJS1P_SX_SY_NST_IJLi5ELi6ELi7EEEENST_IJLi8ELi9ELi10EEEEEEENST_IJLi5ELi6ELi7ELi8ELi9ELi10EEEElEEEEES36_NS_31BlockToCTileMap_M00_N00_M01_N01ILi128ELi128ES1Y_Lb0EEENS1_30ComputePtrOffsetOfStridedBatchILi1ELi1ELi1EvEELb0ELb1EEEvPKT0_S3E_T1_PT2_T3_T4_T5_iT6_T7_T8_T9_T10_T11_
                                        ; -- End function
	.set _ZN2ck16tensor_operation6device12_GLOBAL__N_137kernel_grouped_conv_fwd_dl_multiple_dINS_32GridwiseGemmDlMultipleD_km_kn_mnILi256EaiNS_5TupleIJaEEEaNS0_12element_wise11PassThroughES8_NS7_7AddReluELNS_25InMemoryDataOperationEnumE0ENS_16TensorDescriptorINS5_IJNS_5EmbedINS5_IJiiiiiEEESD_Lb0EEENS_11PassThroughIiEENS_3PadIiiiLb0EEESI_SI_SG_SG_NSC_INS5_IJiiEEESJ_Lb0EEESK_SK_SG_NS_23Merge_v2_magic_divisionINS5_IJiiiiEEEEESN_NS_8RightPadIiiLb0EEESP_NS_7UnMergeISJ_Lb0EEESG_EEENS5_IJNS_8SequenceIJLi0EEEENST_IJLi1EEEENST_IJLi2EEEENST_IJLi3EEEENST_IJLi4EEEENST_IJLi5EEEENST_IJLi6EEEENST_IJLi7EEEENST_IJLi8EEEENST_IJLi9EEEENST_IJLi10EEEENST_IJLi11ELi13ELi15ELi17EEEENST_IJLi12ELi14ELi16ELi18EEEENST_IJLi19EEEENST_IJLi20EEEENST_IJLi22EEEENST_IJLi21EEEEEEENS5_IJNST_IJLi1ELi2ELi3ELi4ELi5EEEES10_S11_S12_S13_S14_NST_IJLi11EEEENST_IJLi12ELi13EEEENST_IJLi14ELi15EEEENST_IJLi16ELi17EEEENST_IJLi18EEEES17_S18_S1A_S19_NST_IJLi23ELi24EEEENST_IJLi25EEEEEEENST_IJLi23ELi25ELi24EEEElEENSB_INS5_IJSR_SP_SP_SR_SG_EEENS5_IJSU_SV_SW_SY_SX_EEENS5_IJNST_IJLi1ELi2EEEESX_SY_NST_IJLi5ELi6EEEES11_EEENST_IJLi5ELi7ELi6EEEElEENSB_INS5_IJSK_SP_SP_EEENS5_IJSU_SV_SW_EEENS5_IJS1P_SX_SY_EEENST_IJLi3ELi4EEEElEELi128ELi128ELi16ELi4ELi4ELi4ELi1ENST_IJLi8ELi2EEEES1Z_NST_IJLi8ELi1ELi1ELi4EEEENST_IJLi2ELi1ELi128ELi1EEEENST_IJLi1ELi2ELi0ELi3EEEES22_NST_IJLi4ELi1ELi1ELi4EEEES22_NST_IJLi1ELi1ELi1ELi4EEEES20_S21_S22_S22_S23_S22_S24_NST_IJLi0ELi1ELi2ELi3ELi4ELi5EEEELi5ELi4EEEaNS5_IJPKaEEEaS8_S8_S9_NSB_INS5_IJSE_SG_SI_SI_SI_SG_SG_SK_SK_SK_SG_SN_SN_SP_SP_SR_SG_SG_NSQ_INS5_IJiNS_17integral_constantIiLi128EEEEEELb0EEENSF_INS2A_IiLi4EEEEEEEENS5_IJSU_SV_SW_SX_SY_SZ_S10_S11_S12_S13_S14_S15_S16_S17_S18_S19_S1A_NST_IJLi23EEEES1J_NST_IJLi24EEEEEEENS5_IJS1C_S10_S11_S12_S13_S14_S1D_S1E_S1F_S1G_S1H_S17_S18_S1A_S19_S1I_S1J_NST_IJLi26EEEENST_IJLi27ELi28EEEENST_IJLi29EEEEEEENST_IJLi26ELi27ELi28ELi29EEEElEENSB_INS5_IJSR_SP_SP_SR_SG_SG_S2D_S2F_EEENS5_IJSU_SV_SW_SY_SX_SZ_S11_S10_EEENS5_IJS1P_SX_SY_S1Q_S11_S12_NST_IJLi9ELi10EEEES1D_EEENST_IJLi8ELi9ELi10ELi11EEEElEENS5_IJNSB_INS5_IJSK_SP_SP_NSQ_INS5_IJiNS2A_IiLi2EEENS2A_IiLi64EEEEEELb0EEES2Z_EEENS5_IJSU_SV_SW_SX_SY_EEENS5_IJS1P_SX_SY_NST_IJLi5ELi6ELi7EEEENST_IJLi8ELi9ELi10EEEEEEENST_IJLi5ELi6ELi7ELi8ELi9ELi10EEEElEEEEES36_NS_31BlockToCTileMap_M00_N00_M01_N01ILi128ELi128ES1Y_Lb0EEENS1_30ComputePtrOffsetOfStridedBatchILi1ELi1ELi1EvEELb0ELb1EEEvPKT0_S3E_T1_PT2_T3_T4_T5_iT6_T7_T8_T9_T10_T11_.num_vgpr, 189
	.set _ZN2ck16tensor_operation6device12_GLOBAL__N_137kernel_grouped_conv_fwd_dl_multiple_dINS_32GridwiseGemmDlMultipleD_km_kn_mnILi256EaiNS_5TupleIJaEEEaNS0_12element_wise11PassThroughES8_NS7_7AddReluELNS_25InMemoryDataOperationEnumE0ENS_16TensorDescriptorINS5_IJNS_5EmbedINS5_IJiiiiiEEESD_Lb0EEENS_11PassThroughIiEENS_3PadIiiiLb0EEESI_SI_SG_SG_NSC_INS5_IJiiEEESJ_Lb0EEESK_SK_SG_NS_23Merge_v2_magic_divisionINS5_IJiiiiEEEEESN_NS_8RightPadIiiLb0EEESP_NS_7UnMergeISJ_Lb0EEESG_EEENS5_IJNS_8SequenceIJLi0EEEENST_IJLi1EEEENST_IJLi2EEEENST_IJLi3EEEENST_IJLi4EEEENST_IJLi5EEEENST_IJLi6EEEENST_IJLi7EEEENST_IJLi8EEEENST_IJLi9EEEENST_IJLi10EEEENST_IJLi11ELi13ELi15ELi17EEEENST_IJLi12ELi14ELi16ELi18EEEENST_IJLi19EEEENST_IJLi20EEEENST_IJLi22EEEENST_IJLi21EEEEEEENS5_IJNST_IJLi1ELi2ELi3ELi4ELi5EEEES10_S11_S12_S13_S14_NST_IJLi11EEEENST_IJLi12ELi13EEEENST_IJLi14ELi15EEEENST_IJLi16ELi17EEEENST_IJLi18EEEES17_S18_S1A_S19_NST_IJLi23ELi24EEEENST_IJLi25EEEEEEENST_IJLi23ELi25ELi24EEEElEENSB_INS5_IJSR_SP_SP_SR_SG_EEENS5_IJSU_SV_SW_SY_SX_EEENS5_IJNST_IJLi1ELi2EEEESX_SY_NST_IJLi5ELi6EEEES11_EEENST_IJLi5ELi7ELi6EEEElEENSB_INS5_IJSK_SP_SP_EEENS5_IJSU_SV_SW_EEENS5_IJS1P_SX_SY_EEENST_IJLi3ELi4EEEElEELi128ELi128ELi16ELi4ELi4ELi4ELi1ENST_IJLi8ELi2EEEES1Z_NST_IJLi8ELi1ELi1ELi4EEEENST_IJLi2ELi1ELi128ELi1EEEENST_IJLi1ELi2ELi0ELi3EEEES22_NST_IJLi4ELi1ELi1ELi4EEEES22_NST_IJLi1ELi1ELi1ELi4EEEES20_S21_S22_S22_S23_S22_S24_NST_IJLi0ELi1ELi2ELi3ELi4ELi5EEEELi5ELi4EEEaNS5_IJPKaEEEaS8_S8_S9_NSB_INS5_IJSE_SG_SI_SI_SI_SG_SG_SK_SK_SK_SG_SN_SN_SP_SP_SR_SG_SG_NSQ_INS5_IJiNS_17integral_constantIiLi128EEEEEELb0EEENSF_INS2A_IiLi4EEEEEEEENS5_IJSU_SV_SW_SX_SY_SZ_S10_S11_S12_S13_S14_S15_S16_S17_S18_S19_S1A_NST_IJLi23EEEES1J_NST_IJLi24EEEEEEENS5_IJS1C_S10_S11_S12_S13_S14_S1D_S1E_S1F_S1G_S1H_S17_S18_S1A_S19_S1I_S1J_NST_IJLi26EEEENST_IJLi27ELi28EEEENST_IJLi29EEEEEEENST_IJLi26ELi27ELi28ELi29EEEElEENSB_INS5_IJSR_SP_SP_SR_SG_SG_S2D_S2F_EEENS5_IJSU_SV_SW_SY_SX_SZ_S11_S10_EEENS5_IJS1P_SX_SY_S1Q_S11_S12_NST_IJLi9ELi10EEEES1D_EEENST_IJLi8ELi9ELi10ELi11EEEElEENS5_IJNSB_INS5_IJSK_SP_SP_NSQ_INS5_IJiNS2A_IiLi2EEENS2A_IiLi64EEEEEELb0EEES2Z_EEENS5_IJSU_SV_SW_SX_SY_EEENS5_IJS1P_SX_SY_NST_IJLi5ELi6ELi7EEEENST_IJLi8ELi9ELi10EEEEEEENST_IJLi5ELi6ELi7ELi8ELi9ELi10EEEElEEEEES36_NS_31BlockToCTileMap_M00_N00_M01_N01ILi128ELi128ES1Y_Lb0EEENS1_30ComputePtrOffsetOfStridedBatchILi1ELi1ELi1EvEELb0ELb1EEEvPKT0_S3E_T1_PT2_T3_T4_T5_iT6_T7_T8_T9_T10_T11_.num_agpr, 0
	.set _ZN2ck16tensor_operation6device12_GLOBAL__N_137kernel_grouped_conv_fwd_dl_multiple_dINS_32GridwiseGemmDlMultipleD_km_kn_mnILi256EaiNS_5TupleIJaEEEaNS0_12element_wise11PassThroughES8_NS7_7AddReluELNS_25InMemoryDataOperationEnumE0ENS_16TensorDescriptorINS5_IJNS_5EmbedINS5_IJiiiiiEEESD_Lb0EEENS_11PassThroughIiEENS_3PadIiiiLb0EEESI_SI_SG_SG_NSC_INS5_IJiiEEESJ_Lb0EEESK_SK_SG_NS_23Merge_v2_magic_divisionINS5_IJiiiiEEEEESN_NS_8RightPadIiiLb0EEESP_NS_7UnMergeISJ_Lb0EEESG_EEENS5_IJNS_8SequenceIJLi0EEEENST_IJLi1EEEENST_IJLi2EEEENST_IJLi3EEEENST_IJLi4EEEENST_IJLi5EEEENST_IJLi6EEEENST_IJLi7EEEENST_IJLi8EEEENST_IJLi9EEEENST_IJLi10EEEENST_IJLi11ELi13ELi15ELi17EEEENST_IJLi12ELi14ELi16ELi18EEEENST_IJLi19EEEENST_IJLi20EEEENST_IJLi22EEEENST_IJLi21EEEEEEENS5_IJNST_IJLi1ELi2ELi3ELi4ELi5EEEES10_S11_S12_S13_S14_NST_IJLi11EEEENST_IJLi12ELi13EEEENST_IJLi14ELi15EEEENST_IJLi16ELi17EEEENST_IJLi18EEEES17_S18_S1A_S19_NST_IJLi23ELi24EEEENST_IJLi25EEEEEEENST_IJLi23ELi25ELi24EEEElEENSB_INS5_IJSR_SP_SP_SR_SG_EEENS5_IJSU_SV_SW_SY_SX_EEENS5_IJNST_IJLi1ELi2EEEESX_SY_NST_IJLi5ELi6EEEES11_EEENST_IJLi5ELi7ELi6EEEElEENSB_INS5_IJSK_SP_SP_EEENS5_IJSU_SV_SW_EEENS5_IJS1P_SX_SY_EEENST_IJLi3ELi4EEEElEELi128ELi128ELi16ELi4ELi4ELi4ELi1ENST_IJLi8ELi2EEEES1Z_NST_IJLi8ELi1ELi1ELi4EEEENST_IJLi2ELi1ELi128ELi1EEEENST_IJLi1ELi2ELi0ELi3EEEES22_NST_IJLi4ELi1ELi1ELi4EEEES22_NST_IJLi1ELi1ELi1ELi4EEEES20_S21_S22_S22_S23_S22_S24_NST_IJLi0ELi1ELi2ELi3ELi4ELi5EEEELi5ELi4EEEaNS5_IJPKaEEEaS8_S8_S9_NSB_INS5_IJSE_SG_SI_SI_SI_SG_SG_SK_SK_SK_SG_SN_SN_SP_SP_SR_SG_SG_NSQ_INS5_IJiNS_17integral_constantIiLi128EEEEEELb0EEENSF_INS2A_IiLi4EEEEEEEENS5_IJSU_SV_SW_SX_SY_SZ_S10_S11_S12_S13_S14_S15_S16_S17_S18_S19_S1A_NST_IJLi23EEEES1J_NST_IJLi24EEEEEEENS5_IJS1C_S10_S11_S12_S13_S14_S1D_S1E_S1F_S1G_S1H_S17_S18_S1A_S19_S1I_S1J_NST_IJLi26EEEENST_IJLi27ELi28EEEENST_IJLi29EEEEEEENST_IJLi26ELi27ELi28ELi29EEEElEENSB_INS5_IJSR_SP_SP_SR_SG_SG_S2D_S2F_EEENS5_IJSU_SV_SW_SY_SX_SZ_S11_S10_EEENS5_IJS1P_SX_SY_S1Q_S11_S12_NST_IJLi9ELi10EEEES1D_EEENST_IJLi8ELi9ELi10ELi11EEEElEENS5_IJNSB_INS5_IJSK_SP_SP_NSQ_INS5_IJiNS2A_IiLi2EEENS2A_IiLi64EEEEEELb0EEES2Z_EEENS5_IJSU_SV_SW_SX_SY_EEENS5_IJS1P_SX_SY_NST_IJLi5ELi6ELi7EEEENST_IJLi8ELi9ELi10EEEEEEENST_IJLi5ELi6ELi7ELi8ELi9ELi10EEEElEEEEES36_NS_31BlockToCTileMap_M00_N00_M01_N01ILi128ELi128ES1Y_Lb0EEENS1_30ComputePtrOffsetOfStridedBatchILi1ELi1ELi1EvEELb0ELb1EEEvPKT0_S3E_T1_PT2_T3_T4_T5_iT6_T7_T8_T9_T10_T11_.numbered_sgpr, 82
	.set _ZN2ck16tensor_operation6device12_GLOBAL__N_137kernel_grouped_conv_fwd_dl_multiple_dINS_32GridwiseGemmDlMultipleD_km_kn_mnILi256EaiNS_5TupleIJaEEEaNS0_12element_wise11PassThroughES8_NS7_7AddReluELNS_25InMemoryDataOperationEnumE0ENS_16TensorDescriptorINS5_IJNS_5EmbedINS5_IJiiiiiEEESD_Lb0EEENS_11PassThroughIiEENS_3PadIiiiLb0EEESI_SI_SG_SG_NSC_INS5_IJiiEEESJ_Lb0EEESK_SK_SG_NS_23Merge_v2_magic_divisionINS5_IJiiiiEEEEESN_NS_8RightPadIiiLb0EEESP_NS_7UnMergeISJ_Lb0EEESG_EEENS5_IJNS_8SequenceIJLi0EEEENST_IJLi1EEEENST_IJLi2EEEENST_IJLi3EEEENST_IJLi4EEEENST_IJLi5EEEENST_IJLi6EEEENST_IJLi7EEEENST_IJLi8EEEENST_IJLi9EEEENST_IJLi10EEEENST_IJLi11ELi13ELi15ELi17EEEENST_IJLi12ELi14ELi16ELi18EEEENST_IJLi19EEEENST_IJLi20EEEENST_IJLi22EEEENST_IJLi21EEEEEEENS5_IJNST_IJLi1ELi2ELi3ELi4ELi5EEEES10_S11_S12_S13_S14_NST_IJLi11EEEENST_IJLi12ELi13EEEENST_IJLi14ELi15EEEENST_IJLi16ELi17EEEENST_IJLi18EEEES17_S18_S1A_S19_NST_IJLi23ELi24EEEENST_IJLi25EEEEEEENST_IJLi23ELi25ELi24EEEElEENSB_INS5_IJSR_SP_SP_SR_SG_EEENS5_IJSU_SV_SW_SY_SX_EEENS5_IJNST_IJLi1ELi2EEEESX_SY_NST_IJLi5ELi6EEEES11_EEENST_IJLi5ELi7ELi6EEEElEENSB_INS5_IJSK_SP_SP_EEENS5_IJSU_SV_SW_EEENS5_IJS1P_SX_SY_EEENST_IJLi3ELi4EEEElEELi128ELi128ELi16ELi4ELi4ELi4ELi1ENST_IJLi8ELi2EEEES1Z_NST_IJLi8ELi1ELi1ELi4EEEENST_IJLi2ELi1ELi128ELi1EEEENST_IJLi1ELi2ELi0ELi3EEEES22_NST_IJLi4ELi1ELi1ELi4EEEES22_NST_IJLi1ELi1ELi1ELi4EEEES20_S21_S22_S22_S23_S22_S24_NST_IJLi0ELi1ELi2ELi3ELi4ELi5EEEELi5ELi4EEEaNS5_IJPKaEEEaS8_S8_S9_NSB_INS5_IJSE_SG_SI_SI_SI_SG_SG_SK_SK_SK_SG_SN_SN_SP_SP_SR_SG_SG_NSQ_INS5_IJiNS_17integral_constantIiLi128EEEEEELb0EEENSF_INS2A_IiLi4EEEEEEEENS5_IJSU_SV_SW_SX_SY_SZ_S10_S11_S12_S13_S14_S15_S16_S17_S18_S19_S1A_NST_IJLi23EEEES1J_NST_IJLi24EEEEEEENS5_IJS1C_S10_S11_S12_S13_S14_S1D_S1E_S1F_S1G_S1H_S17_S18_S1A_S19_S1I_S1J_NST_IJLi26EEEENST_IJLi27ELi28EEEENST_IJLi29EEEEEEENST_IJLi26ELi27ELi28ELi29EEEElEENSB_INS5_IJSR_SP_SP_SR_SG_SG_S2D_S2F_EEENS5_IJSU_SV_SW_SY_SX_SZ_S11_S10_EEENS5_IJS1P_SX_SY_S1Q_S11_S12_NST_IJLi9ELi10EEEES1D_EEENST_IJLi8ELi9ELi10ELi11EEEElEENS5_IJNSB_INS5_IJSK_SP_SP_NSQ_INS5_IJiNS2A_IiLi2EEENS2A_IiLi64EEEEEELb0EEES2Z_EEENS5_IJSU_SV_SW_SX_SY_EEENS5_IJS1P_SX_SY_NST_IJLi5ELi6ELi7EEEENST_IJLi8ELi9ELi10EEEEEEENST_IJLi5ELi6ELi7ELi8ELi9ELi10EEEElEEEEES36_NS_31BlockToCTileMap_M00_N00_M01_N01ILi128ELi128ES1Y_Lb0EEENS1_30ComputePtrOffsetOfStridedBatchILi1ELi1ELi1EvEELb0ELb1EEEvPKT0_S3E_T1_PT2_T3_T4_T5_iT6_T7_T8_T9_T10_T11_.num_named_barrier, 0
	.set _ZN2ck16tensor_operation6device12_GLOBAL__N_137kernel_grouped_conv_fwd_dl_multiple_dINS_32GridwiseGemmDlMultipleD_km_kn_mnILi256EaiNS_5TupleIJaEEEaNS0_12element_wise11PassThroughES8_NS7_7AddReluELNS_25InMemoryDataOperationEnumE0ENS_16TensorDescriptorINS5_IJNS_5EmbedINS5_IJiiiiiEEESD_Lb0EEENS_11PassThroughIiEENS_3PadIiiiLb0EEESI_SI_SG_SG_NSC_INS5_IJiiEEESJ_Lb0EEESK_SK_SG_NS_23Merge_v2_magic_divisionINS5_IJiiiiEEEEESN_NS_8RightPadIiiLb0EEESP_NS_7UnMergeISJ_Lb0EEESG_EEENS5_IJNS_8SequenceIJLi0EEEENST_IJLi1EEEENST_IJLi2EEEENST_IJLi3EEEENST_IJLi4EEEENST_IJLi5EEEENST_IJLi6EEEENST_IJLi7EEEENST_IJLi8EEEENST_IJLi9EEEENST_IJLi10EEEENST_IJLi11ELi13ELi15ELi17EEEENST_IJLi12ELi14ELi16ELi18EEEENST_IJLi19EEEENST_IJLi20EEEENST_IJLi22EEEENST_IJLi21EEEEEEENS5_IJNST_IJLi1ELi2ELi3ELi4ELi5EEEES10_S11_S12_S13_S14_NST_IJLi11EEEENST_IJLi12ELi13EEEENST_IJLi14ELi15EEEENST_IJLi16ELi17EEEENST_IJLi18EEEES17_S18_S1A_S19_NST_IJLi23ELi24EEEENST_IJLi25EEEEEEENST_IJLi23ELi25ELi24EEEElEENSB_INS5_IJSR_SP_SP_SR_SG_EEENS5_IJSU_SV_SW_SY_SX_EEENS5_IJNST_IJLi1ELi2EEEESX_SY_NST_IJLi5ELi6EEEES11_EEENST_IJLi5ELi7ELi6EEEElEENSB_INS5_IJSK_SP_SP_EEENS5_IJSU_SV_SW_EEENS5_IJS1P_SX_SY_EEENST_IJLi3ELi4EEEElEELi128ELi128ELi16ELi4ELi4ELi4ELi1ENST_IJLi8ELi2EEEES1Z_NST_IJLi8ELi1ELi1ELi4EEEENST_IJLi2ELi1ELi128ELi1EEEENST_IJLi1ELi2ELi0ELi3EEEES22_NST_IJLi4ELi1ELi1ELi4EEEES22_NST_IJLi1ELi1ELi1ELi4EEEES20_S21_S22_S22_S23_S22_S24_NST_IJLi0ELi1ELi2ELi3ELi4ELi5EEEELi5ELi4EEEaNS5_IJPKaEEEaS8_S8_S9_NSB_INS5_IJSE_SG_SI_SI_SI_SG_SG_SK_SK_SK_SG_SN_SN_SP_SP_SR_SG_SG_NSQ_INS5_IJiNS_17integral_constantIiLi128EEEEEELb0EEENSF_INS2A_IiLi4EEEEEEEENS5_IJSU_SV_SW_SX_SY_SZ_S10_S11_S12_S13_S14_S15_S16_S17_S18_S19_S1A_NST_IJLi23EEEES1J_NST_IJLi24EEEEEEENS5_IJS1C_S10_S11_S12_S13_S14_S1D_S1E_S1F_S1G_S1H_S17_S18_S1A_S19_S1I_S1J_NST_IJLi26EEEENST_IJLi27ELi28EEEENST_IJLi29EEEEEEENST_IJLi26ELi27ELi28ELi29EEEElEENSB_INS5_IJSR_SP_SP_SR_SG_SG_S2D_S2F_EEENS5_IJSU_SV_SW_SY_SX_SZ_S11_S10_EEENS5_IJS1P_SX_SY_S1Q_S11_S12_NST_IJLi9ELi10EEEES1D_EEENST_IJLi8ELi9ELi10ELi11EEEElEENS5_IJNSB_INS5_IJSK_SP_SP_NSQ_INS5_IJiNS2A_IiLi2EEENS2A_IiLi64EEEEEELb0EEES2Z_EEENS5_IJSU_SV_SW_SX_SY_EEENS5_IJS1P_SX_SY_NST_IJLi5ELi6ELi7EEEENST_IJLi8ELi9ELi10EEEEEEENST_IJLi5ELi6ELi7ELi8ELi9ELi10EEEElEEEEES36_NS_31BlockToCTileMap_M00_N00_M01_N01ILi128ELi128ES1Y_Lb0EEENS1_30ComputePtrOffsetOfStridedBatchILi1ELi1ELi1EvEELb0ELb1EEEvPKT0_S3E_T1_PT2_T3_T4_T5_iT6_T7_T8_T9_T10_T11_.private_seg_size, 0
	.set _ZN2ck16tensor_operation6device12_GLOBAL__N_137kernel_grouped_conv_fwd_dl_multiple_dINS_32GridwiseGemmDlMultipleD_km_kn_mnILi256EaiNS_5TupleIJaEEEaNS0_12element_wise11PassThroughES8_NS7_7AddReluELNS_25InMemoryDataOperationEnumE0ENS_16TensorDescriptorINS5_IJNS_5EmbedINS5_IJiiiiiEEESD_Lb0EEENS_11PassThroughIiEENS_3PadIiiiLb0EEESI_SI_SG_SG_NSC_INS5_IJiiEEESJ_Lb0EEESK_SK_SG_NS_23Merge_v2_magic_divisionINS5_IJiiiiEEEEESN_NS_8RightPadIiiLb0EEESP_NS_7UnMergeISJ_Lb0EEESG_EEENS5_IJNS_8SequenceIJLi0EEEENST_IJLi1EEEENST_IJLi2EEEENST_IJLi3EEEENST_IJLi4EEEENST_IJLi5EEEENST_IJLi6EEEENST_IJLi7EEEENST_IJLi8EEEENST_IJLi9EEEENST_IJLi10EEEENST_IJLi11ELi13ELi15ELi17EEEENST_IJLi12ELi14ELi16ELi18EEEENST_IJLi19EEEENST_IJLi20EEEENST_IJLi22EEEENST_IJLi21EEEEEEENS5_IJNST_IJLi1ELi2ELi3ELi4ELi5EEEES10_S11_S12_S13_S14_NST_IJLi11EEEENST_IJLi12ELi13EEEENST_IJLi14ELi15EEEENST_IJLi16ELi17EEEENST_IJLi18EEEES17_S18_S1A_S19_NST_IJLi23ELi24EEEENST_IJLi25EEEEEEENST_IJLi23ELi25ELi24EEEElEENSB_INS5_IJSR_SP_SP_SR_SG_EEENS5_IJSU_SV_SW_SY_SX_EEENS5_IJNST_IJLi1ELi2EEEESX_SY_NST_IJLi5ELi6EEEES11_EEENST_IJLi5ELi7ELi6EEEElEENSB_INS5_IJSK_SP_SP_EEENS5_IJSU_SV_SW_EEENS5_IJS1P_SX_SY_EEENST_IJLi3ELi4EEEElEELi128ELi128ELi16ELi4ELi4ELi4ELi1ENST_IJLi8ELi2EEEES1Z_NST_IJLi8ELi1ELi1ELi4EEEENST_IJLi2ELi1ELi128ELi1EEEENST_IJLi1ELi2ELi0ELi3EEEES22_NST_IJLi4ELi1ELi1ELi4EEEES22_NST_IJLi1ELi1ELi1ELi4EEEES20_S21_S22_S22_S23_S22_S24_NST_IJLi0ELi1ELi2ELi3ELi4ELi5EEEELi5ELi4EEEaNS5_IJPKaEEEaS8_S8_S9_NSB_INS5_IJSE_SG_SI_SI_SI_SG_SG_SK_SK_SK_SG_SN_SN_SP_SP_SR_SG_SG_NSQ_INS5_IJiNS_17integral_constantIiLi128EEEEEELb0EEENSF_INS2A_IiLi4EEEEEEEENS5_IJSU_SV_SW_SX_SY_SZ_S10_S11_S12_S13_S14_S15_S16_S17_S18_S19_S1A_NST_IJLi23EEEES1J_NST_IJLi24EEEEEEENS5_IJS1C_S10_S11_S12_S13_S14_S1D_S1E_S1F_S1G_S1H_S17_S18_S1A_S19_S1I_S1J_NST_IJLi26EEEENST_IJLi27ELi28EEEENST_IJLi29EEEEEEENST_IJLi26ELi27ELi28ELi29EEEElEENSB_INS5_IJSR_SP_SP_SR_SG_SG_S2D_S2F_EEENS5_IJSU_SV_SW_SY_SX_SZ_S11_S10_EEENS5_IJS1P_SX_SY_S1Q_S11_S12_NST_IJLi9ELi10EEEES1D_EEENST_IJLi8ELi9ELi10ELi11EEEElEENS5_IJNSB_INS5_IJSK_SP_SP_NSQ_INS5_IJiNS2A_IiLi2EEENS2A_IiLi64EEEEEELb0EEES2Z_EEENS5_IJSU_SV_SW_SX_SY_EEENS5_IJS1P_SX_SY_NST_IJLi5ELi6ELi7EEEENST_IJLi8ELi9ELi10EEEEEEENST_IJLi5ELi6ELi7ELi8ELi9ELi10EEEElEEEEES36_NS_31BlockToCTileMap_M00_N00_M01_N01ILi128ELi128ES1Y_Lb0EEENS1_30ComputePtrOffsetOfStridedBatchILi1ELi1ELi1EvEELb0ELb1EEEvPKT0_S3E_T1_PT2_T3_T4_T5_iT6_T7_T8_T9_T10_T11_.uses_vcc, 1
	.set _ZN2ck16tensor_operation6device12_GLOBAL__N_137kernel_grouped_conv_fwd_dl_multiple_dINS_32GridwiseGemmDlMultipleD_km_kn_mnILi256EaiNS_5TupleIJaEEEaNS0_12element_wise11PassThroughES8_NS7_7AddReluELNS_25InMemoryDataOperationEnumE0ENS_16TensorDescriptorINS5_IJNS_5EmbedINS5_IJiiiiiEEESD_Lb0EEENS_11PassThroughIiEENS_3PadIiiiLb0EEESI_SI_SG_SG_NSC_INS5_IJiiEEESJ_Lb0EEESK_SK_SG_NS_23Merge_v2_magic_divisionINS5_IJiiiiEEEEESN_NS_8RightPadIiiLb0EEESP_NS_7UnMergeISJ_Lb0EEESG_EEENS5_IJNS_8SequenceIJLi0EEEENST_IJLi1EEEENST_IJLi2EEEENST_IJLi3EEEENST_IJLi4EEEENST_IJLi5EEEENST_IJLi6EEEENST_IJLi7EEEENST_IJLi8EEEENST_IJLi9EEEENST_IJLi10EEEENST_IJLi11ELi13ELi15ELi17EEEENST_IJLi12ELi14ELi16ELi18EEEENST_IJLi19EEEENST_IJLi20EEEENST_IJLi22EEEENST_IJLi21EEEEEEENS5_IJNST_IJLi1ELi2ELi3ELi4ELi5EEEES10_S11_S12_S13_S14_NST_IJLi11EEEENST_IJLi12ELi13EEEENST_IJLi14ELi15EEEENST_IJLi16ELi17EEEENST_IJLi18EEEES17_S18_S1A_S19_NST_IJLi23ELi24EEEENST_IJLi25EEEEEEENST_IJLi23ELi25ELi24EEEElEENSB_INS5_IJSR_SP_SP_SR_SG_EEENS5_IJSU_SV_SW_SY_SX_EEENS5_IJNST_IJLi1ELi2EEEESX_SY_NST_IJLi5ELi6EEEES11_EEENST_IJLi5ELi7ELi6EEEElEENSB_INS5_IJSK_SP_SP_EEENS5_IJSU_SV_SW_EEENS5_IJS1P_SX_SY_EEENST_IJLi3ELi4EEEElEELi128ELi128ELi16ELi4ELi4ELi4ELi1ENST_IJLi8ELi2EEEES1Z_NST_IJLi8ELi1ELi1ELi4EEEENST_IJLi2ELi1ELi128ELi1EEEENST_IJLi1ELi2ELi0ELi3EEEES22_NST_IJLi4ELi1ELi1ELi4EEEES22_NST_IJLi1ELi1ELi1ELi4EEEES20_S21_S22_S22_S23_S22_S24_NST_IJLi0ELi1ELi2ELi3ELi4ELi5EEEELi5ELi4EEEaNS5_IJPKaEEEaS8_S8_S9_NSB_INS5_IJSE_SG_SI_SI_SI_SG_SG_SK_SK_SK_SG_SN_SN_SP_SP_SR_SG_SG_NSQ_INS5_IJiNS_17integral_constantIiLi128EEEEEELb0EEENSF_INS2A_IiLi4EEEEEEEENS5_IJSU_SV_SW_SX_SY_SZ_S10_S11_S12_S13_S14_S15_S16_S17_S18_S19_S1A_NST_IJLi23EEEES1J_NST_IJLi24EEEEEEENS5_IJS1C_S10_S11_S12_S13_S14_S1D_S1E_S1F_S1G_S1H_S17_S18_S1A_S19_S1I_S1J_NST_IJLi26EEEENST_IJLi27ELi28EEEENST_IJLi29EEEEEEENST_IJLi26ELi27ELi28ELi29EEEElEENSB_INS5_IJSR_SP_SP_SR_SG_SG_S2D_S2F_EEENS5_IJSU_SV_SW_SY_SX_SZ_S11_S10_EEENS5_IJS1P_SX_SY_S1Q_S11_S12_NST_IJLi9ELi10EEEES1D_EEENST_IJLi8ELi9ELi10ELi11EEEElEENS5_IJNSB_INS5_IJSK_SP_SP_NSQ_INS5_IJiNS2A_IiLi2EEENS2A_IiLi64EEEEEELb0EEES2Z_EEENS5_IJSU_SV_SW_SX_SY_EEENS5_IJS1P_SX_SY_NST_IJLi5ELi6ELi7EEEENST_IJLi8ELi9ELi10EEEEEEENST_IJLi5ELi6ELi7ELi8ELi9ELi10EEEElEEEEES36_NS_31BlockToCTileMap_M00_N00_M01_N01ILi128ELi128ES1Y_Lb0EEENS1_30ComputePtrOffsetOfStridedBatchILi1ELi1ELi1EvEELb0ELb1EEEvPKT0_S3E_T1_PT2_T3_T4_T5_iT6_T7_T8_T9_T10_T11_.uses_flat_scratch, 0
	.set _ZN2ck16tensor_operation6device12_GLOBAL__N_137kernel_grouped_conv_fwd_dl_multiple_dINS_32GridwiseGemmDlMultipleD_km_kn_mnILi256EaiNS_5TupleIJaEEEaNS0_12element_wise11PassThroughES8_NS7_7AddReluELNS_25InMemoryDataOperationEnumE0ENS_16TensorDescriptorINS5_IJNS_5EmbedINS5_IJiiiiiEEESD_Lb0EEENS_11PassThroughIiEENS_3PadIiiiLb0EEESI_SI_SG_SG_NSC_INS5_IJiiEEESJ_Lb0EEESK_SK_SG_NS_23Merge_v2_magic_divisionINS5_IJiiiiEEEEESN_NS_8RightPadIiiLb0EEESP_NS_7UnMergeISJ_Lb0EEESG_EEENS5_IJNS_8SequenceIJLi0EEEENST_IJLi1EEEENST_IJLi2EEEENST_IJLi3EEEENST_IJLi4EEEENST_IJLi5EEEENST_IJLi6EEEENST_IJLi7EEEENST_IJLi8EEEENST_IJLi9EEEENST_IJLi10EEEENST_IJLi11ELi13ELi15ELi17EEEENST_IJLi12ELi14ELi16ELi18EEEENST_IJLi19EEEENST_IJLi20EEEENST_IJLi22EEEENST_IJLi21EEEEEEENS5_IJNST_IJLi1ELi2ELi3ELi4ELi5EEEES10_S11_S12_S13_S14_NST_IJLi11EEEENST_IJLi12ELi13EEEENST_IJLi14ELi15EEEENST_IJLi16ELi17EEEENST_IJLi18EEEES17_S18_S1A_S19_NST_IJLi23ELi24EEEENST_IJLi25EEEEEEENST_IJLi23ELi25ELi24EEEElEENSB_INS5_IJSR_SP_SP_SR_SG_EEENS5_IJSU_SV_SW_SY_SX_EEENS5_IJNST_IJLi1ELi2EEEESX_SY_NST_IJLi5ELi6EEEES11_EEENST_IJLi5ELi7ELi6EEEElEENSB_INS5_IJSK_SP_SP_EEENS5_IJSU_SV_SW_EEENS5_IJS1P_SX_SY_EEENST_IJLi3ELi4EEEElEELi128ELi128ELi16ELi4ELi4ELi4ELi1ENST_IJLi8ELi2EEEES1Z_NST_IJLi8ELi1ELi1ELi4EEEENST_IJLi2ELi1ELi128ELi1EEEENST_IJLi1ELi2ELi0ELi3EEEES22_NST_IJLi4ELi1ELi1ELi4EEEES22_NST_IJLi1ELi1ELi1ELi4EEEES20_S21_S22_S22_S23_S22_S24_NST_IJLi0ELi1ELi2ELi3ELi4ELi5EEEELi5ELi4EEEaNS5_IJPKaEEEaS8_S8_S9_NSB_INS5_IJSE_SG_SI_SI_SI_SG_SG_SK_SK_SK_SG_SN_SN_SP_SP_SR_SG_SG_NSQ_INS5_IJiNS_17integral_constantIiLi128EEEEEELb0EEENSF_INS2A_IiLi4EEEEEEEENS5_IJSU_SV_SW_SX_SY_SZ_S10_S11_S12_S13_S14_S15_S16_S17_S18_S19_S1A_NST_IJLi23EEEES1J_NST_IJLi24EEEEEEENS5_IJS1C_S10_S11_S12_S13_S14_S1D_S1E_S1F_S1G_S1H_S17_S18_S1A_S19_S1I_S1J_NST_IJLi26EEEENST_IJLi27ELi28EEEENST_IJLi29EEEEEEENST_IJLi26ELi27ELi28ELi29EEEElEENSB_INS5_IJSR_SP_SP_SR_SG_SG_S2D_S2F_EEENS5_IJSU_SV_SW_SY_SX_SZ_S11_S10_EEENS5_IJS1P_SX_SY_S1Q_S11_S12_NST_IJLi9ELi10EEEES1D_EEENST_IJLi8ELi9ELi10ELi11EEEElEENS5_IJNSB_INS5_IJSK_SP_SP_NSQ_INS5_IJiNS2A_IiLi2EEENS2A_IiLi64EEEEEELb0EEES2Z_EEENS5_IJSU_SV_SW_SX_SY_EEENS5_IJS1P_SX_SY_NST_IJLi5ELi6ELi7EEEENST_IJLi8ELi9ELi10EEEEEEENST_IJLi5ELi6ELi7ELi8ELi9ELi10EEEElEEEEES36_NS_31BlockToCTileMap_M00_N00_M01_N01ILi128ELi128ES1Y_Lb0EEENS1_30ComputePtrOffsetOfStridedBatchILi1ELi1ELi1EvEELb0ELb1EEEvPKT0_S3E_T1_PT2_T3_T4_T5_iT6_T7_T8_T9_T10_T11_.has_dyn_sized_stack, 0
	.set _ZN2ck16tensor_operation6device12_GLOBAL__N_137kernel_grouped_conv_fwd_dl_multiple_dINS_32GridwiseGemmDlMultipleD_km_kn_mnILi256EaiNS_5TupleIJaEEEaNS0_12element_wise11PassThroughES8_NS7_7AddReluELNS_25InMemoryDataOperationEnumE0ENS_16TensorDescriptorINS5_IJNS_5EmbedINS5_IJiiiiiEEESD_Lb0EEENS_11PassThroughIiEENS_3PadIiiiLb0EEESI_SI_SG_SG_NSC_INS5_IJiiEEESJ_Lb0EEESK_SK_SG_NS_23Merge_v2_magic_divisionINS5_IJiiiiEEEEESN_NS_8RightPadIiiLb0EEESP_NS_7UnMergeISJ_Lb0EEESG_EEENS5_IJNS_8SequenceIJLi0EEEENST_IJLi1EEEENST_IJLi2EEEENST_IJLi3EEEENST_IJLi4EEEENST_IJLi5EEEENST_IJLi6EEEENST_IJLi7EEEENST_IJLi8EEEENST_IJLi9EEEENST_IJLi10EEEENST_IJLi11ELi13ELi15ELi17EEEENST_IJLi12ELi14ELi16ELi18EEEENST_IJLi19EEEENST_IJLi20EEEENST_IJLi22EEEENST_IJLi21EEEEEEENS5_IJNST_IJLi1ELi2ELi3ELi4ELi5EEEES10_S11_S12_S13_S14_NST_IJLi11EEEENST_IJLi12ELi13EEEENST_IJLi14ELi15EEEENST_IJLi16ELi17EEEENST_IJLi18EEEES17_S18_S1A_S19_NST_IJLi23ELi24EEEENST_IJLi25EEEEEEENST_IJLi23ELi25ELi24EEEElEENSB_INS5_IJSR_SP_SP_SR_SG_EEENS5_IJSU_SV_SW_SY_SX_EEENS5_IJNST_IJLi1ELi2EEEESX_SY_NST_IJLi5ELi6EEEES11_EEENST_IJLi5ELi7ELi6EEEElEENSB_INS5_IJSK_SP_SP_EEENS5_IJSU_SV_SW_EEENS5_IJS1P_SX_SY_EEENST_IJLi3ELi4EEEElEELi128ELi128ELi16ELi4ELi4ELi4ELi1ENST_IJLi8ELi2EEEES1Z_NST_IJLi8ELi1ELi1ELi4EEEENST_IJLi2ELi1ELi128ELi1EEEENST_IJLi1ELi2ELi0ELi3EEEES22_NST_IJLi4ELi1ELi1ELi4EEEES22_NST_IJLi1ELi1ELi1ELi4EEEES20_S21_S22_S22_S23_S22_S24_NST_IJLi0ELi1ELi2ELi3ELi4ELi5EEEELi5ELi4EEEaNS5_IJPKaEEEaS8_S8_S9_NSB_INS5_IJSE_SG_SI_SI_SI_SG_SG_SK_SK_SK_SG_SN_SN_SP_SP_SR_SG_SG_NSQ_INS5_IJiNS_17integral_constantIiLi128EEEEEELb0EEENSF_INS2A_IiLi4EEEEEEEENS5_IJSU_SV_SW_SX_SY_SZ_S10_S11_S12_S13_S14_S15_S16_S17_S18_S19_S1A_NST_IJLi23EEEES1J_NST_IJLi24EEEEEEENS5_IJS1C_S10_S11_S12_S13_S14_S1D_S1E_S1F_S1G_S1H_S17_S18_S1A_S19_S1I_S1J_NST_IJLi26EEEENST_IJLi27ELi28EEEENST_IJLi29EEEEEEENST_IJLi26ELi27ELi28ELi29EEEElEENSB_INS5_IJSR_SP_SP_SR_SG_SG_S2D_S2F_EEENS5_IJSU_SV_SW_SY_SX_SZ_S11_S10_EEENS5_IJS1P_SX_SY_S1Q_S11_S12_NST_IJLi9ELi10EEEES1D_EEENST_IJLi8ELi9ELi10ELi11EEEElEENS5_IJNSB_INS5_IJSK_SP_SP_NSQ_INS5_IJiNS2A_IiLi2EEENS2A_IiLi64EEEEEELb0EEES2Z_EEENS5_IJSU_SV_SW_SX_SY_EEENS5_IJS1P_SX_SY_NST_IJLi5ELi6ELi7EEEENST_IJLi8ELi9ELi10EEEEEEENST_IJLi5ELi6ELi7ELi8ELi9ELi10EEEElEEEEES36_NS_31BlockToCTileMap_M00_N00_M01_N01ILi128ELi128ES1Y_Lb0EEENS1_30ComputePtrOffsetOfStridedBatchILi1ELi1ELi1EvEELb0ELb1EEEvPKT0_S3E_T1_PT2_T3_T4_T5_iT6_T7_T8_T9_T10_T11_.has_recursion, 0
	.set _ZN2ck16tensor_operation6device12_GLOBAL__N_137kernel_grouped_conv_fwd_dl_multiple_dINS_32GridwiseGemmDlMultipleD_km_kn_mnILi256EaiNS_5TupleIJaEEEaNS0_12element_wise11PassThroughES8_NS7_7AddReluELNS_25InMemoryDataOperationEnumE0ENS_16TensorDescriptorINS5_IJNS_5EmbedINS5_IJiiiiiEEESD_Lb0EEENS_11PassThroughIiEENS_3PadIiiiLb0EEESI_SI_SG_SG_NSC_INS5_IJiiEEESJ_Lb0EEESK_SK_SG_NS_23Merge_v2_magic_divisionINS5_IJiiiiEEEEESN_NS_8RightPadIiiLb0EEESP_NS_7UnMergeISJ_Lb0EEESG_EEENS5_IJNS_8SequenceIJLi0EEEENST_IJLi1EEEENST_IJLi2EEEENST_IJLi3EEEENST_IJLi4EEEENST_IJLi5EEEENST_IJLi6EEEENST_IJLi7EEEENST_IJLi8EEEENST_IJLi9EEEENST_IJLi10EEEENST_IJLi11ELi13ELi15ELi17EEEENST_IJLi12ELi14ELi16ELi18EEEENST_IJLi19EEEENST_IJLi20EEEENST_IJLi22EEEENST_IJLi21EEEEEEENS5_IJNST_IJLi1ELi2ELi3ELi4ELi5EEEES10_S11_S12_S13_S14_NST_IJLi11EEEENST_IJLi12ELi13EEEENST_IJLi14ELi15EEEENST_IJLi16ELi17EEEENST_IJLi18EEEES17_S18_S1A_S19_NST_IJLi23ELi24EEEENST_IJLi25EEEEEEENST_IJLi23ELi25ELi24EEEElEENSB_INS5_IJSR_SP_SP_SR_SG_EEENS5_IJSU_SV_SW_SY_SX_EEENS5_IJNST_IJLi1ELi2EEEESX_SY_NST_IJLi5ELi6EEEES11_EEENST_IJLi5ELi7ELi6EEEElEENSB_INS5_IJSK_SP_SP_EEENS5_IJSU_SV_SW_EEENS5_IJS1P_SX_SY_EEENST_IJLi3ELi4EEEElEELi128ELi128ELi16ELi4ELi4ELi4ELi1ENST_IJLi8ELi2EEEES1Z_NST_IJLi8ELi1ELi1ELi4EEEENST_IJLi2ELi1ELi128ELi1EEEENST_IJLi1ELi2ELi0ELi3EEEES22_NST_IJLi4ELi1ELi1ELi4EEEES22_NST_IJLi1ELi1ELi1ELi4EEEES20_S21_S22_S22_S23_S22_S24_NST_IJLi0ELi1ELi2ELi3ELi4ELi5EEEELi5ELi4EEEaNS5_IJPKaEEEaS8_S8_S9_NSB_INS5_IJSE_SG_SI_SI_SI_SG_SG_SK_SK_SK_SG_SN_SN_SP_SP_SR_SG_SG_NSQ_INS5_IJiNS_17integral_constantIiLi128EEEEEELb0EEENSF_INS2A_IiLi4EEEEEEEENS5_IJSU_SV_SW_SX_SY_SZ_S10_S11_S12_S13_S14_S15_S16_S17_S18_S19_S1A_NST_IJLi23EEEES1J_NST_IJLi24EEEEEEENS5_IJS1C_S10_S11_S12_S13_S14_S1D_S1E_S1F_S1G_S1H_S17_S18_S1A_S19_S1I_S1J_NST_IJLi26EEEENST_IJLi27ELi28EEEENST_IJLi29EEEEEEENST_IJLi26ELi27ELi28ELi29EEEElEENSB_INS5_IJSR_SP_SP_SR_SG_SG_S2D_S2F_EEENS5_IJSU_SV_SW_SY_SX_SZ_S11_S10_EEENS5_IJS1P_SX_SY_S1Q_S11_S12_NST_IJLi9ELi10EEEES1D_EEENST_IJLi8ELi9ELi10ELi11EEEElEENS5_IJNSB_INS5_IJSK_SP_SP_NSQ_INS5_IJiNS2A_IiLi2EEENS2A_IiLi64EEEEEELb0EEES2Z_EEENS5_IJSU_SV_SW_SX_SY_EEENS5_IJS1P_SX_SY_NST_IJLi5ELi6ELi7EEEENST_IJLi8ELi9ELi10EEEEEEENST_IJLi5ELi6ELi7ELi8ELi9ELi10EEEElEEEEES36_NS_31BlockToCTileMap_M00_N00_M01_N01ILi128ELi128ES1Y_Lb0EEENS1_30ComputePtrOffsetOfStridedBatchILi1ELi1ELi1EvEELb0ELb1EEEvPKT0_S3E_T1_PT2_T3_T4_T5_iT6_T7_T8_T9_T10_T11_.has_indirect_call, 0
	.section	.AMDGPU.csdata,"",@progbits
; Kernel info:
; codeLenInByte = 24516
; TotalNumSgprs: 84
; NumVgprs: 189
; ScratchSize: 0
; MemoryBound: 0
; FloatMode: 240
; IeeeMode: 1
; LDSByteSize: 32768 bytes/workgroup (compile time only)
; SGPRBlocks: 0
; VGPRBlocks: 23
; NumSGPRsForWavesPerEU: 84
; NumVGPRsForWavesPerEU: 189
; Occupancy: 8
; WaveLimiterHint : 0
; COMPUTE_PGM_RSRC2:SCRATCH_EN: 0
; COMPUTE_PGM_RSRC2:USER_SGPR: 2
; COMPUTE_PGM_RSRC2:TRAP_HANDLER: 0
; COMPUTE_PGM_RSRC2:TGID_X_EN: 1
; COMPUTE_PGM_RSRC2:TGID_Y_EN: 0
; COMPUTE_PGM_RSRC2:TGID_Z_EN: 0
; COMPUTE_PGM_RSRC2:TIDIG_COMP_CNT: 0
	.section	.text._ZN2ck16tensor_operation6device12_GLOBAL__N_137kernel_grouped_conv_fwd_dl_multiple_dINS_32GridwiseGemmDlMultipleD_km_kn_mnILi256EaiNS_5TupleIJaEEEaNS0_12element_wise11PassThroughES8_NS7_7AddReluELNS_25InMemoryDataOperationEnumE0ENS_16TensorDescriptorINS5_IJNS_5EmbedINS5_IJiiiiiEEESD_Lb0EEENS_11PassThroughIiEENS_3PadIiiiLb0EEESI_SI_SG_SG_NSC_INS5_IJiiEEESJ_Lb0EEESK_SK_SG_NS_23Merge_v2_magic_divisionINS5_IJiiiiEEEEESN_NS_8RightPadIiiLb0EEESP_NS_7UnMergeISJ_Lb0EEESG_EEENS5_IJNS_8SequenceIJLi0EEEENST_IJLi1EEEENST_IJLi2EEEENST_IJLi3EEEENST_IJLi4EEEENST_IJLi5EEEENST_IJLi6EEEENST_IJLi7EEEENST_IJLi8EEEENST_IJLi9EEEENST_IJLi10EEEENST_IJLi11ELi13ELi15ELi17EEEENST_IJLi12ELi14ELi16ELi18EEEENST_IJLi19EEEENST_IJLi20EEEENST_IJLi22EEEENST_IJLi21EEEEEEENS5_IJNST_IJLi1ELi2ELi3ELi4ELi5EEEES10_S11_S12_S13_S14_NST_IJLi11EEEENST_IJLi12ELi13EEEENST_IJLi14ELi15EEEENST_IJLi16ELi17EEEENST_IJLi18EEEES17_S18_S1A_S19_NST_IJLi23ELi24EEEENST_IJLi25EEEEEEENST_IJLi23ELi25ELi24EEEElEENSB_INS5_IJSR_SP_SP_SR_SG_EEENS5_IJSU_SV_SW_SY_SX_EEENS5_IJNST_IJLi1ELi2EEEESX_SY_NST_IJLi5ELi6EEEES11_EEENST_IJLi5ELi7ELi6EEEElEENSB_INS5_IJSK_SP_SP_EEENS5_IJSU_SV_SW_EEENS5_IJS1P_SX_SY_EEENST_IJLi3ELi4EEEElEELi128ELi128ELi16ELi4ELi4ELi4ELi1ENST_IJLi8ELi2EEEES1Z_NST_IJLi8ELi1ELi1ELi4EEEENST_IJLi2ELi1ELi128ELi1EEEENST_IJLi1ELi2ELi0ELi3EEEES22_NST_IJLi4ELi1ELi1ELi4EEEES22_NST_IJLi1ELi1ELi1ELi4EEEES20_S21_S22_S22_S23_S22_S24_NST_IJLi0ELi1ELi2ELi3ELi4ELi5EEEELi5ELi4EEEaNS5_IJPKaEEEaS8_S8_S9_NSB_INS5_IJSE_SG_SI_SI_SI_SG_SG_SK_SK_SK_SG_SN_SN_SP_SP_SR_SG_SG_NSQ_INS5_IJiNS_17integral_constantIiLi128EEEEEELb0EEENSF_INS2A_IiLi4EEEEEEEENS5_IJSU_SV_SW_SX_SY_SZ_S10_S11_S12_S13_S14_S15_S16_S17_S18_S19_S1A_NST_IJLi23EEEES1J_NST_IJLi24EEEEEEENS5_IJS1C_S10_S11_S12_S13_S14_S1D_S1E_S1F_S1G_S1H_S17_S18_S1A_S19_S1I_S1J_NST_IJLi26EEEENST_IJLi27ELi28EEEENST_IJLi29EEEEEEENST_IJLi26ELi27ELi28ELi29EEEElEENSB_INS5_IJSR_SP_SP_SR_SG_SG_S2D_S2F_EEENS5_IJSU_SV_SW_SY_SX_SZ_S11_S10_EEENS5_IJS1P_SX_SY_S1Q_S11_S12_NST_IJLi9ELi10EEEES1D_EEENST_IJLi8ELi9ELi10ELi11EEEElEENS5_IJNSB_INS5_IJSK_SP_SP_NSQ_INS5_IJiNS2A_IiLi2EEENS2A_IiLi64EEEEEELb0EEES2Z_EEENS5_IJSU_SV_SW_SX_SY_EEENS5_IJS1P_SX_SY_NST_IJLi5ELi6ELi7EEEENST_IJLi8ELi9ELi10EEEEEEENST_IJLi5ELi6ELi7ELi8ELi9ELi10EEEElEEEEES36_NS_31BlockToCTileMap_M00_N00_M01_N01ILi128ELi128ES1Y_Lb0EEENS1_30ComputePtrOffsetOfStridedBatchILi1ELi1ELi1EvEELb0ELb0EEEvPKT0_S3E_T1_PT2_T3_T4_T5_iT6_T7_T8_T9_T10_T11_,"axG",@progbits,_ZN2ck16tensor_operation6device12_GLOBAL__N_137kernel_grouped_conv_fwd_dl_multiple_dINS_32GridwiseGemmDlMultipleD_km_kn_mnILi256EaiNS_5TupleIJaEEEaNS0_12element_wise11PassThroughES8_NS7_7AddReluELNS_25InMemoryDataOperationEnumE0ENS_16TensorDescriptorINS5_IJNS_5EmbedINS5_IJiiiiiEEESD_Lb0EEENS_11PassThroughIiEENS_3PadIiiiLb0EEESI_SI_SG_SG_NSC_INS5_IJiiEEESJ_Lb0EEESK_SK_SG_NS_23Merge_v2_magic_divisionINS5_IJiiiiEEEEESN_NS_8RightPadIiiLb0EEESP_NS_7UnMergeISJ_Lb0EEESG_EEENS5_IJNS_8SequenceIJLi0EEEENST_IJLi1EEEENST_IJLi2EEEENST_IJLi3EEEENST_IJLi4EEEENST_IJLi5EEEENST_IJLi6EEEENST_IJLi7EEEENST_IJLi8EEEENST_IJLi9EEEENST_IJLi10EEEENST_IJLi11ELi13ELi15ELi17EEEENST_IJLi12ELi14ELi16ELi18EEEENST_IJLi19EEEENST_IJLi20EEEENST_IJLi22EEEENST_IJLi21EEEEEEENS5_IJNST_IJLi1ELi2ELi3ELi4ELi5EEEES10_S11_S12_S13_S14_NST_IJLi11EEEENST_IJLi12ELi13EEEENST_IJLi14ELi15EEEENST_IJLi16ELi17EEEENST_IJLi18EEEES17_S18_S1A_S19_NST_IJLi23ELi24EEEENST_IJLi25EEEEEEENST_IJLi23ELi25ELi24EEEElEENSB_INS5_IJSR_SP_SP_SR_SG_EEENS5_IJSU_SV_SW_SY_SX_EEENS5_IJNST_IJLi1ELi2EEEESX_SY_NST_IJLi5ELi6EEEES11_EEENST_IJLi5ELi7ELi6EEEElEENSB_INS5_IJSK_SP_SP_EEENS5_IJSU_SV_SW_EEENS5_IJS1P_SX_SY_EEENST_IJLi3ELi4EEEElEELi128ELi128ELi16ELi4ELi4ELi4ELi1ENST_IJLi8ELi2EEEES1Z_NST_IJLi8ELi1ELi1ELi4EEEENST_IJLi2ELi1ELi128ELi1EEEENST_IJLi1ELi2ELi0ELi3EEEES22_NST_IJLi4ELi1ELi1ELi4EEEES22_NST_IJLi1ELi1ELi1ELi4EEEES20_S21_S22_S22_S23_S22_S24_NST_IJLi0ELi1ELi2ELi3ELi4ELi5EEEELi5ELi4EEEaNS5_IJPKaEEEaS8_S8_S9_NSB_INS5_IJSE_SG_SI_SI_SI_SG_SG_SK_SK_SK_SG_SN_SN_SP_SP_SR_SG_SG_NSQ_INS5_IJiNS_17integral_constantIiLi128EEEEEELb0EEENSF_INS2A_IiLi4EEEEEEEENS5_IJSU_SV_SW_SX_SY_SZ_S10_S11_S12_S13_S14_S15_S16_S17_S18_S19_S1A_NST_IJLi23EEEES1J_NST_IJLi24EEEEEEENS5_IJS1C_S10_S11_S12_S13_S14_S1D_S1E_S1F_S1G_S1H_S17_S18_S1A_S19_S1I_S1J_NST_IJLi26EEEENST_IJLi27ELi28EEEENST_IJLi29EEEEEEENST_IJLi26ELi27ELi28ELi29EEEElEENSB_INS5_IJSR_SP_SP_SR_SG_SG_S2D_S2F_EEENS5_IJSU_SV_SW_SY_SX_SZ_S11_S10_EEENS5_IJS1P_SX_SY_S1Q_S11_S12_NST_IJLi9ELi10EEEES1D_EEENST_IJLi8ELi9ELi10ELi11EEEElEENS5_IJNSB_INS5_IJSK_SP_SP_NSQ_INS5_IJiNS2A_IiLi2EEENS2A_IiLi64EEEEEELb0EEES2Z_EEENS5_IJSU_SV_SW_SX_SY_EEENS5_IJS1P_SX_SY_NST_IJLi5ELi6ELi7EEEENST_IJLi8ELi9ELi10EEEEEEENST_IJLi5ELi6ELi7ELi8ELi9ELi10EEEElEEEEES36_NS_31BlockToCTileMap_M00_N00_M01_N01ILi128ELi128ES1Y_Lb0EEENS1_30ComputePtrOffsetOfStridedBatchILi1ELi1ELi1EvEELb0ELb0EEEvPKT0_S3E_T1_PT2_T3_T4_T5_iT6_T7_T8_T9_T10_T11_,comdat
	.globl	_ZN2ck16tensor_operation6device12_GLOBAL__N_137kernel_grouped_conv_fwd_dl_multiple_dINS_32GridwiseGemmDlMultipleD_km_kn_mnILi256EaiNS_5TupleIJaEEEaNS0_12element_wise11PassThroughES8_NS7_7AddReluELNS_25InMemoryDataOperationEnumE0ENS_16TensorDescriptorINS5_IJNS_5EmbedINS5_IJiiiiiEEESD_Lb0EEENS_11PassThroughIiEENS_3PadIiiiLb0EEESI_SI_SG_SG_NSC_INS5_IJiiEEESJ_Lb0EEESK_SK_SG_NS_23Merge_v2_magic_divisionINS5_IJiiiiEEEEESN_NS_8RightPadIiiLb0EEESP_NS_7UnMergeISJ_Lb0EEESG_EEENS5_IJNS_8SequenceIJLi0EEEENST_IJLi1EEEENST_IJLi2EEEENST_IJLi3EEEENST_IJLi4EEEENST_IJLi5EEEENST_IJLi6EEEENST_IJLi7EEEENST_IJLi8EEEENST_IJLi9EEEENST_IJLi10EEEENST_IJLi11ELi13ELi15ELi17EEEENST_IJLi12ELi14ELi16ELi18EEEENST_IJLi19EEEENST_IJLi20EEEENST_IJLi22EEEENST_IJLi21EEEEEEENS5_IJNST_IJLi1ELi2ELi3ELi4ELi5EEEES10_S11_S12_S13_S14_NST_IJLi11EEEENST_IJLi12ELi13EEEENST_IJLi14ELi15EEEENST_IJLi16ELi17EEEENST_IJLi18EEEES17_S18_S1A_S19_NST_IJLi23ELi24EEEENST_IJLi25EEEEEEENST_IJLi23ELi25ELi24EEEElEENSB_INS5_IJSR_SP_SP_SR_SG_EEENS5_IJSU_SV_SW_SY_SX_EEENS5_IJNST_IJLi1ELi2EEEESX_SY_NST_IJLi5ELi6EEEES11_EEENST_IJLi5ELi7ELi6EEEElEENSB_INS5_IJSK_SP_SP_EEENS5_IJSU_SV_SW_EEENS5_IJS1P_SX_SY_EEENST_IJLi3ELi4EEEElEELi128ELi128ELi16ELi4ELi4ELi4ELi1ENST_IJLi8ELi2EEEES1Z_NST_IJLi8ELi1ELi1ELi4EEEENST_IJLi2ELi1ELi128ELi1EEEENST_IJLi1ELi2ELi0ELi3EEEES22_NST_IJLi4ELi1ELi1ELi4EEEES22_NST_IJLi1ELi1ELi1ELi4EEEES20_S21_S22_S22_S23_S22_S24_NST_IJLi0ELi1ELi2ELi3ELi4ELi5EEEELi5ELi4EEEaNS5_IJPKaEEEaS8_S8_S9_NSB_INS5_IJSE_SG_SI_SI_SI_SG_SG_SK_SK_SK_SG_SN_SN_SP_SP_SR_SG_SG_NSQ_INS5_IJiNS_17integral_constantIiLi128EEEEEELb0EEENSF_INS2A_IiLi4EEEEEEEENS5_IJSU_SV_SW_SX_SY_SZ_S10_S11_S12_S13_S14_S15_S16_S17_S18_S19_S1A_NST_IJLi23EEEES1J_NST_IJLi24EEEEEEENS5_IJS1C_S10_S11_S12_S13_S14_S1D_S1E_S1F_S1G_S1H_S17_S18_S1A_S19_S1I_S1J_NST_IJLi26EEEENST_IJLi27ELi28EEEENST_IJLi29EEEEEEENST_IJLi26ELi27ELi28ELi29EEEElEENSB_INS5_IJSR_SP_SP_SR_SG_SG_S2D_S2F_EEENS5_IJSU_SV_SW_SY_SX_SZ_S11_S10_EEENS5_IJS1P_SX_SY_S1Q_S11_S12_NST_IJLi9ELi10EEEES1D_EEENST_IJLi8ELi9ELi10ELi11EEEElEENS5_IJNSB_INS5_IJSK_SP_SP_NSQ_INS5_IJiNS2A_IiLi2EEENS2A_IiLi64EEEEEELb0EEES2Z_EEENS5_IJSU_SV_SW_SX_SY_EEENS5_IJS1P_SX_SY_NST_IJLi5ELi6ELi7EEEENST_IJLi8ELi9ELi10EEEEEEENST_IJLi5ELi6ELi7ELi8ELi9ELi10EEEElEEEEES36_NS_31BlockToCTileMap_M00_N00_M01_N01ILi128ELi128ES1Y_Lb0EEENS1_30ComputePtrOffsetOfStridedBatchILi1ELi1ELi1EvEELb0ELb0EEEvPKT0_S3E_T1_PT2_T3_T4_T5_iT6_T7_T8_T9_T10_T11_ ; -- Begin function _ZN2ck16tensor_operation6device12_GLOBAL__N_137kernel_grouped_conv_fwd_dl_multiple_dINS_32GridwiseGemmDlMultipleD_km_kn_mnILi256EaiNS_5TupleIJaEEEaNS0_12element_wise11PassThroughES8_NS7_7AddReluELNS_25InMemoryDataOperationEnumE0ENS_16TensorDescriptorINS5_IJNS_5EmbedINS5_IJiiiiiEEESD_Lb0EEENS_11PassThroughIiEENS_3PadIiiiLb0EEESI_SI_SG_SG_NSC_INS5_IJiiEEESJ_Lb0EEESK_SK_SG_NS_23Merge_v2_magic_divisionINS5_IJiiiiEEEEESN_NS_8RightPadIiiLb0EEESP_NS_7UnMergeISJ_Lb0EEESG_EEENS5_IJNS_8SequenceIJLi0EEEENST_IJLi1EEEENST_IJLi2EEEENST_IJLi3EEEENST_IJLi4EEEENST_IJLi5EEEENST_IJLi6EEEENST_IJLi7EEEENST_IJLi8EEEENST_IJLi9EEEENST_IJLi10EEEENST_IJLi11ELi13ELi15ELi17EEEENST_IJLi12ELi14ELi16ELi18EEEENST_IJLi19EEEENST_IJLi20EEEENST_IJLi22EEEENST_IJLi21EEEEEEENS5_IJNST_IJLi1ELi2ELi3ELi4ELi5EEEES10_S11_S12_S13_S14_NST_IJLi11EEEENST_IJLi12ELi13EEEENST_IJLi14ELi15EEEENST_IJLi16ELi17EEEENST_IJLi18EEEES17_S18_S1A_S19_NST_IJLi23ELi24EEEENST_IJLi25EEEEEEENST_IJLi23ELi25ELi24EEEElEENSB_INS5_IJSR_SP_SP_SR_SG_EEENS5_IJSU_SV_SW_SY_SX_EEENS5_IJNST_IJLi1ELi2EEEESX_SY_NST_IJLi5ELi6EEEES11_EEENST_IJLi5ELi7ELi6EEEElEENSB_INS5_IJSK_SP_SP_EEENS5_IJSU_SV_SW_EEENS5_IJS1P_SX_SY_EEENST_IJLi3ELi4EEEElEELi128ELi128ELi16ELi4ELi4ELi4ELi1ENST_IJLi8ELi2EEEES1Z_NST_IJLi8ELi1ELi1ELi4EEEENST_IJLi2ELi1ELi128ELi1EEEENST_IJLi1ELi2ELi0ELi3EEEES22_NST_IJLi4ELi1ELi1ELi4EEEES22_NST_IJLi1ELi1ELi1ELi4EEEES20_S21_S22_S22_S23_S22_S24_NST_IJLi0ELi1ELi2ELi3ELi4ELi5EEEELi5ELi4EEEaNS5_IJPKaEEEaS8_S8_S9_NSB_INS5_IJSE_SG_SI_SI_SI_SG_SG_SK_SK_SK_SG_SN_SN_SP_SP_SR_SG_SG_NSQ_INS5_IJiNS_17integral_constantIiLi128EEEEEELb0EEENSF_INS2A_IiLi4EEEEEEEENS5_IJSU_SV_SW_SX_SY_SZ_S10_S11_S12_S13_S14_S15_S16_S17_S18_S19_S1A_NST_IJLi23EEEES1J_NST_IJLi24EEEEEEENS5_IJS1C_S10_S11_S12_S13_S14_S1D_S1E_S1F_S1G_S1H_S17_S18_S1A_S19_S1I_S1J_NST_IJLi26EEEENST_IJLi27ELi28EEEENST_IJLi29EEEEEEENST_IJLi26ELi27ELi28ELi29EEEElEENSB_INS5_IJSR_SP_SP_SR_SG_SG_S2D_S2F_EEENS5_IJSU_SV_SW_SY_SX_SZ_S11_S10_EEENS5_IJS1P_SX_SY_S1Q_S11_S12_NST_IJLi9ELi10EEEES1D_EEENST_IJLi8ELi9ELi10ELi11EEEElEENS5_IJNSB_INS5_IJSK_SP_SP_NSQ_INS5_IJiNS2A_IiLi2EEENS2A_IiLi64EEEEEELb0EEES2Z_EEENS5_IJSU_SV_SW_SX_SY_EEENS5_IJS1P_SX_SY_NST_IJLi5ELi6ELi7EEEENST_IJLi8ELi9ELi10EEEEEEENST_IJLi5ELi6ELi7ELi8ELi9ELi10EEEElEEEEES36_NS_31BlockToCTileMap_M00_N00_M01_N01ILi128ELi128ES1Y_Lb0EEENS1_30ComputePtrOffsetOfStridedBatchILi1ELi1ELi1EvEELb0ELb0EEEvPKT0_S3E_T1_PT2_T3_T4_T5_iT6_T7_T8_T9_T10_T11_
	.p2align	8
	.type	_ZN2ck16tensor_operation6device12_GLOBAL__N_137kernel_grouped_conv_fwd_dl_multiple_dINS_32GridwiseGemmDlMultipleD_km_kn_mnILi256EaiNS_5TupleIJaEEEaNS0_12element_wise11PassThroughES8_NS7_7AddReluELNS_25InMemoryDataOperationEnumE0ENS_16TensorDescriptorINS5_IJNS_5EmbedINS5_IJiiiiiEEESD_Lb0EEENS_11PassThroughIiEENS_3PadIiiiLb0EEESI_SI_SG_SG_NSC_INS5_IJiiEEESJ_Lb0EEESK_SK_SG_NS_23Merge_v2_magic_divisionINS5_IJiiiiEEEEESN_NS_8RightPadIiiLb0EEESP_NS_7UnMergeISJ_Lb0EEESG_EEENS5_IJNS_8SequenceIJLi0EEEENST_IJLi1EEEENST_IJLi2EEEENST_IJLi3EEEENST_IJLi4EEEENST_IJLi5EEEENST_IJLi6EEEENST_IJLi7EEEENST_IJLi8EEEENST_IJLi9EEEENST_IJLi10EEEENST_IJLi11ELi13ELi15ELi17EEEENST_IJLi12ELi14ELi16ELi18EEEENST_IJLi19EEEENST_IJLi20EEEENST_IJLi22EEEENST_IJLi21EEEEEEENS5_IJNST_IJLi1ELi2ELi3ELi4ELi5EEEES10_S11_S12_S13_S14_NST_IJLi11EEEENST_IJLi12ELi13EEEENST_IJLi14ELi15EEEENST_IJLi16ELi17EEEENST_IJLi18EEEES17_S18_S1A_S19_NST_IJLi23ELi24EEEENST_IJLi25EEEEEEENST_IJLi23ELi25ELi24EEEElEENSB_INS5_IJSR_SP_SP_SR_SG_EEENS5_IJSU_SV_SW_SY_SX_EEENS5_IJNST_IJLi1ELi2EEEESX_SY_NST_IJLi5ELi6EEEES11_EEENST_IJLi5ELi7ELi6EEEElEENSB_INS5_IJSK_SP_SP_EEENS5_IJSU_SV_SW_EEENS5_IJS1P_SX_SY_EEENST_IJLi3ELi4EEEElEELi128ELi128ELi16ELi4ELi4ELi4ELi1ENST_IJLi8ELi2EEEES1Z_NST_IJLi8ELi1ELi1ELi4EEEENST_IJLi2ELi1ELi128ELi1EEEENST_IJLi1ELi2ELi0ELi3EEEES22_NST_IJLi4ELi1ELi1ELi4EEEES22_NST_IJLi1ELi1ELi1ELi4EEEES20_S21_S22_S22_S23_S22_S24_NST_IJLi0ELi1ELi2ELi3ELi4ELi5EEEELi5ELi4EEEaNS5_IJPKaEEEaS8_S8_S9_NSB_INS5_IJSE_SG_SI_SI_SI_SG_SG_SK_SK_SK_SG_SN_SN_SP_SP_SR_SG_SG_NSQ_INS5_IJiNS_17integral_constantIiLi128EEEEEELb0EEENSF_INS2A_IiLi4EEEEEEEENS5_IJSU_SV_SW_SX_SY_SZ_S10_S11_S12_S13_S14_S15_S16_S17_S18_S19_S1A_NST_IJLi23EEEES1J_NST_IJLi24EEEEEEENS5_IJS1C_S10_S11_S12_S13_S14_S1D_S1E_S1F_S1G_S1H_S17_S18_S1A_S19_S1I_S1J_NST_IJLi26EEEENST_IJLi27ELi28EEEENST_IJLi29EEEEEEENST_IJLi26ELi27ELi28ELi29EEEElEENSB_INS5_IJSR_SP_SP_SR_SG_SG_S2D_S2F_EEENS5_IJSU_SV_SW_SY_SX_SZ_S11_S10_EEENS5_IJS1P_SX_SY_S1Q_S11_S12_NST_IJLi9ELi10EEEES1D_EEENST_IJLi8ELi9ELi10ELi11EEEElEENS5_IJNSB_INS5_IJSK_SP_SP_NSQ_INS5_IJiNS2A_IiLi2EEENS2A_IiLi64EEEEEELb0EEES2Z_EEENS5_IJSU_SV_SW_SX_SY_EEENS5_IJS1P_SX_SY_NST_IJLi5ELi6ELi7EEEENST_IJLi8ELi9ELi10EEEEEEENST_IJLi5ELi6ELi7ELi8ELi9ELi10EEEElEEEEES36_NS_31BlockToCTileMap_M00_N00_M01_N01ILi128ELi128ES1Y_Lb0EEENS1_30ComputePtrOffsetOfStridedBatchILi1ELi1ELi1EvEELb0ELb0EEEvPKT0_S3E_T1_PT2_T3_T4_T5_iT6_T7_T8_T9_T10_T11_,@function
_ZN2ck16tensor_operation6device12_GLOBAL__N_137kernel_grouped_conv_fwd_dl_multiple_dINS_32GridwiseGemmDlMultipleD_km_kn_mnILi256EaiNS_5TupleIJaEEEaNS0_12element_wise11PassThroughES8_NS7_7AddReluELNS_25InMemoryDataOperationEnumE0ENS_16TensorDescriptorINS5_IJNS_5EmbedINS5_IJiiiiiEEESD_Lb0EEENS_11PassThroughIiEENS_3PadIiiiLb0EEESI_SI_SG_SG_NSC_INS5_IJiiEEESJ_Lb0EEESK_SK_SG_NS_23Merge_v2_magic_divisionINS5_IJiiiiEEEEESN_NS_8RightPadIiiLb0EEESP_NS_7UnMergeISJ_Lb0EEESG_EEENS5_IJNS_8SequenceIJLi0EEEENST_IJLi1EEEENST_IJLi2EEEENST_IJLi3EEEENST_IJLi4EEEENST_IJLi5EEEENST_IJLi6EEEENST_IJLi7EEEENST_IJLi8EEEENST_IJLi9EEEENST_IJLi10EEEENST_IJLi11ELi13ELi15ELi17EEEENST_IJLi12ELi14ELi16ELi18EEEENST_IJLi19EEEENST_IJLi20EEEENST_IJLi22EEEENST_IJLi21EEEEEEENS5_IJNST_IJLi1ELi2ELi3ELi4ELi5EEEES10_S11_S12_S13_S14_NST_IJLi11EEEENST_IJLi12ELi13EEEENST_IJLi14ELi15EEEENST_IJLi16ELi17EEEENST_IJLi18EEEES17_S18_S1A_S19_NST_IJLi23ELi24EEEENST_IJLi25EEEEEEENST_IJLi23ELi25ELi24EEEElEENSB_INS5_IJSR_SP_SP_SR_SG_EEENS5_IJSU_SV_SW_SY_SX_EEENS5_IJNST_IJLi1ELi2EEEESX_SY_NST_IJLi5ELi6EEEES11_EEENST_IJLi5ELi7ELi6EEEElEENSB_INS5_IJSK_SP_SP_EEENS5_IJSU_SV_SW_EEENS5_IJS1P_SX_SY_EEENST_IJLi3ELi4EEEElEELi128ELi128ELi16ELi4ELi4ELi4ELi1ENST_IJLi8ELi2EEEES1Z_NST_IJLi8ELi1ELi1ELi4EEEENST_IJLi2ELi1ELi128ELi1EEEENST_IJLi1ELi2ELi0ELi3EEEES22_NST_IJLi4ELi1ELi1ELi4EEEES22_NST_IJLi1ELi1ELi1ELi4EEEES20_S21_S22_S22_S23_S22_S24_NST_IJLi0ELi1ELi2ELi3ELi4ELi5EEEELi5ELi4EEEaNS5_IJPKaEEEaS8_S8_S9_NSB_INS5_IJSE_SG_SI_SI_SI_SG_SG_SK_SK_SK_SG_SN_SN_SP_SP_SR_SG_SG_NSQ_INS5_IJiNS_17integral_constantIiLi128EEEEEELb0EEENSF_INS2A_IiLi4EEEEEEEENS5_IJSU_SV_SW_SX_SY_SZ_S10_S11_S12_S13_S14_S15_S16_S17_S18_S19_S1A_NST_IJLi23EEEES1J_NST_IJLi24EEEEEEENS5_IJS1C_S10_S11_S12_S13_S14_S1D_S1E_S1F_S1G_S1H_S17_S18_S1A_S19_S1I_S1J_NST_IJLi26EEEENST_IJLi27ELi28EEEENST_IJLi29EEEEEEENST_IJLi26ELi27ELi28ELi29EEEElEENSB_INS5_IJSR_SP_SP_SR_SG_SG_S2D_S2F_EEENS5_IJSU_SV_SW_SY_SX_SZ_S11_S10_EEENS5_IJS1P_SX_SY_S1Q_S11_S12_NST_IJLi9ELi10EEEES1D_EEENST_IJLi8ELi9ELi10ELi11EEEElEENS5_IJNSB_INS5_IJSK_SP_SP_NSQ_INS5_IJiNS2A_IiLi2EEENS2A_IiLi64EEEEEELb0EEES2Z_EEENS5_IJSU_SV_SW_SX_SY_EEENS5_IJS1P_SX_SY_NST_IJLi5ELi6ELi7EEEENST_IJLi8ELi9ELi10EEEEEEENST_IJLi5ELi6ELi7ELi8ELi9ELi10EEEElEEEEES36_NS_31BlockToCTileMap_M00_N00_M01_N01ILi128ELi128ES1Y_Lb0EEENS1_30ComputePtrOffsetOfStridedBatchILi1ELi1ELi1EvEELb0ELb0EEEvPKT0_S3E_T1_PT2_T3_T4_T5_iT6_T7_T8_T9_T10_T11_: ; @_ZN2ck16tensor_operation6device12_GLOBAL__N_137kernel_grouped_conv_fwd_dl_multiple_dINS_32GridwiseGemmDlMultipleD_km_kn_mnILi256EaiNS_5TupleIJaEEEaNS0_12element_wise11PassThroughES8_NS7_7AddReluELNS_25InMemoryDataOperationEnumE0ENS_16TensorDescriptorINS5_IJNS_5EmbedINS5_IJiiiiiEEESD_Lb0EEENS_11PassThroughIiEENS_3PadIiiiLb0EEESI_SI_SG_SG_NSC_INS5_IJiiEEESJ_Lb0EEESK_SK_SG_NS_23Merge_v2_magic_divisionINS5_IJiiiiEEEEESN_NS_8RightPadIiiLb0EEESP_NS_7UnMergeISJ_Lb0EEESG_EEENS5_IJNS_8SequenceIJLi0EEEENST_IJLi1EEEENST_IJLi2EEEENST_IJLi3EEEENST_IJLi4EEEENST_IJLi5EEEENST_IJLi6EEEENST_IJLi7EEEENST_IJLi8EEEENST_IJLi9EEEENST_IJLi10EEEENST_IJLi11ELi13ELi15ELi17EEEENST_IJLi12ELi14ELi16ELi18EEEENST_IJLi19EEEENST_IJLi20EEEENST_IJLi22EEEENST_IJLi21EEEEEEENS5_IJNST_IJLi1ELi2ELi3ELi4ELi5EEEES10_S11_S12_S13_S14_NST_IJLi11EEEENST_IJLi12ELi13EEEENST_IJLi14ELi15EEEENST_IJLi16ELi17EEEENST_IJLi18EEEES17_S18_S1A_S19_NST_IJLi23ELi24EEEENST_IJLi25EEEEEEENST_IJLi23ELi25ELi24EEEElEENSB_INS5_IJSR_SP_SP_SR_SG_EEENS5_IJSU_SV_SW_SY_SX_EEENS5_IJNST_IJLi1ELi2EEEESX_SY_NST_IJLi5ELi6EEEES11_EEENST_IJLi5ELi7ELi6EEEElEENSB_INS5_IJSK_SP_SP_EEENS5_IJSU_SV_SW_EEENS5_IJS1P_SX_SY_EEENST_IJLi3ELi4EEEElEELi128ELi128ELi16ELi4ELi4ELi4ELi1ENST_IJLi8ELi2EEEES1Z_NST_IJLi8ELi1ELi1ELi4EEEENST_IJLi2ELi1ELi128ELi1EEEENST_IJLi1ELi2ELi0ELi3EEEES22_NST_IJLi4ELi1ELi1ELi4EEEES22_NST_IJLi1ELi1ELi1ELi4EEEES20_S21_S22_S22_S23_S22_S24_NST_IJLi0ELi1ELi2ELi3ELi4ELi5EEEELi5ELi4EEEaNS5_IJPKaEEEaS8_S8_S9_NSB_INS5_IJSE_SG_SI_SI_SI_SG_SG_SK_SK_SK_SG_SN_SN_SP_SP_SR_SG_SG_NSQ_INS5_IJiNS_17integral_constantIiLi128EEEEEELb0EEENSF_INS2A_IiLi4EEEEEEEENS5_IJSU_SV_SW_SX_SY_SZ_S10_S11_S12_S13_S14_S15_S16_S17_S18_S19_S1A_NST_IJLi23EEEES1J_NST_IJLi24EEEEEEENS5_IJS1C_S10_S11_S12_S13_S14_S1D_S1E_S1F_S1G_S1H_S17_S18_S1A_S19_S1I_S1J_NST_IJLi26EEEENST_IJLi27ELi28EEEENST_IJLi29EEEEEEENST_IJLi26ELi27ELi28ELi29EEEElEENSB_INS5_IJSR_SP_SP_SR_SG_SG_S2D_S2F_EEENS5_IJSU_SV_SW_SY_SX_SZ_S11_S10_EEENS5_IJS1P_SX_SY_S1Q_S11_S12_NST_IJLi9ELi10EEEES1D_EEENST_IJLi8ELi9ELi10ELi11EEEElEENS5_IJNSB_INS5_IJSK_SP_SP_NSQ_INS5_IJiNS2A_IiLi2EEENS2A_IiLi64EEEEEELb0EEES2Z_EEENS5_IJSU_SV_SW_SX_SY_EEENS5_IJS1P_SX_SY_NST_IJLi5ELi6ELi7EEEENST_IJLi8ELi9ELi10EEEEEEENST_IJLi5ELi6ELi7ELi8ELi9ELi10EEEElEEEEES36_NS_31BlockToCTileMap_M00_N00_M01_N01ILi128ELi128ES1Y_Lb0EEENS1_30ComputePtrOffsetOfStridedBatchILi1ELi1ELi1EvEELb0ELb0EEEvPKT0_S3E_T1_PT2_T3_T4_T5_iT6_T7_T8_T9_T10_T11_
; %bb.0:
	s_clause 0x2
	s_load_b32 s2, s[0:1], 0x24
	s_load_b128 s[24:27], s[0:1], 0x3c
	s_load_b32 s33, s[0:1], 0x4c
	v_lshlrev_b32_e32 v2, 3, v0
	s_load_b96 s[36:38], s[0:1], 0xc8
	v_lshrrev_b32_e32 v28, 1, v0
	s_mov_b32 s23, 0x31004000
	s_load_b128 s[60:63], s[0:1], 0x2c0
	v_and_b32_e32 v25, 8, v2
	s_mov_b32 s39, s23
	s_load_b32 s71, s[0:1], 0x28c
	s_wait_kmcnt 0x0
	s_abs_i32 s3, s2
	s_delay_alu instid0(SALU_CYCLE_1) | instskip(SKIP_1) | instid1(SALU_CYCLE_2)
	s_cvt_f32_u32 s4, s3
	s_sub_co_i32 s6, 0, s3
	v_rcp_iflag_f32_e32 v1, s4
	s_clause 0x4
	s_load_b32 s4, s[0:1], 0x300
	s_load_b96 s[20:22], s[0:1], 0x10c
	s_load_b32 s47, s[0:1], 0x120
	s_load_b32 s51, s[0:1], 0x12c
	;; [unrolled: 1-line block ×3, first 2 shown]
	s_delay_alu instid0(TRANS32_DEP_1) | instskip(SKIP_2) | instid1(SALU_CYCLE_2)
	v_readfirstlane_b32 s5, v1
	s_mul_f32 s5, s5, 0x4f7ffffe
	s_wait_alu 0xfffe
	s_cvt_u32_f32 s5, s5
	s_wait_kmcnt 0x0
	s_abs_i32 s7, s4
	s_xor_b32 s2, s4, s2
	s_wait_alu 0xfffe
	s_mul_i32 s6, s6, s5
	s_ashr_i32 s2, s2, 31
	s_mul_hi_u32 s6, s5, s6
	v_mul_lo_u32 v26, s14, v25
	s_add_co_i32 s5, s5, s6
	s_wait_alu 0xfffe
	s_mul_hi_u32 s5, s7, s5
	s_wait_alu 0xfffe
	s_mul_i32 s4, s5, s3
	s_add_co_i32 s6, s5, 1
	s_wait_alu 0xfffe
	s_sub_co_i32 s4, s7, s4
	v_cmp_gt_i32_e32 vcc_lo, s51, v26
	s_wait_alu 0xfffe
	s_sub_co_i32 s7, s4, s3
	s_cmp_ge_u32 s4, s3
	s_cselect_b32 s5, s6, s5
	s_cselect_b32 s4, s7, s4
	s_wait_alu 0xfffe
	s_add_co_i32 s6, s5, 1
	s_cmp_ge_u32 s4, s3
	s_cselect_b32 s3, s6, s5
	s_clause 0x2
	s_load_b256 s[4:11], s[0:1], 0x0
	s_load_b32 s43, s[0:1], 0x58
	s_load_b96 s[40:42], s[0:1], 0x54
	s_xor_b32 s3, s3, s2
	s_wait_kmcnt 0x0
	s_clause 0x3
	s_load_b32 s41, s[0:1], 0x64
	s_load_b96 s[44:46], s[0:1], 0x60
	s_load_b96 s[52:54], s[0:1], 0xec
	;; [unrolled: 1-line block ×3, first 2 shown]
	s_sub_co_i32 s13, s3, s2
	s_delay_alu instid0(SALU_CYCLE_1) | instskip(SKIP_3) | instid1(SALU_CYCLE_2)
	s_abs_i32 s12, s13
	s_xor_b32 s13, ttmp9, s13
	s_cvt_f32_u32 s2, s12
	s_sub_co_i32 s34, 0, s12
	v_rcp_iflag_f32_e32 v1, s2
	s_wait_kmcnt 0x0
	s_clause 0x5
	s_load_b32 s45, s[0:1], 0x70
	s_load_b64 s[68:69], s[0:1], 0x88
	s_load_b64 s[2:3], s[0:1], 0x98
	s_load_b96 s[48:50], s[0:1], 0x6c
	s_load_b128 s[28:31], s[0:1], 0x298
	s_load_b128 s[16:19], s[0:1], 0x2ac
	s_wait_kmcnt 0x0
	s_ashr_i32 s49, s13, 31
	v_readfirstlane_b32 s15, v1
	v_or_b32_e32 v1, 4, v25
	s_mul_f32 s15, s15, 0x4f7ffffe
	s_delay_alu instid0(VALU_DEP_1) | instskip(SKIP_4) | instid1(SALU_CYCLE_2)
	v_mul_lo_u32 v27, s14, v1
	v_mul_hi_u32 v1, v26, s66
	s_wait_alu 0xfffe
	s_cvt_u32_f32 s15, s15
	s_wait_alu 0xfffe
	s_mul_i32 s34, s34, s15
	s_delay_alu instid0(VALU_DEP_2)
	v_mul_hi_u32 v2, v27, s66
	s_mul_hi_u32 s14, s15, s34
	s_abs_i32 s34, ttmp9
	s_wait_alu 0xfffe
	s_add_co_i32 s15, s15, s14
	v_add_nc_u32_e32 v1, v26, v1
	s_wait_alu 0xfffe
	s_mul_hi_u32 s14, s34, s15
	s_clause 0x1
	s_load_b64 s[66:67], s[0:1], 0xa8
	s_load_b96 s[56:58], s[0:1], 0xb8
	s_mul_i32 s15, s14, s12
	v_add_nc_u32_e32 v2, v27, v2
	s_wait_alu 0xfffe
	s_sub_co_i32 s13, s34, s15
	s_add_co_i32 s15, s14, 1
	s_sub_co_i32 s34, s13, s12
	s_cmp_ge_u32 s13, s12
	v_lshrrev_b32_e32 v4, s22, v1
	s_wait_alu 0xfffe
	s_cselect_b32 s14, s15, s14
	s_cselect_b32 s13, s34, s13
	s_wait_alu 0xfffe
	s_add_co_i32 s15, s14, 1
	s_cmp_ge_u32 s13, s12
	s_mul_hi_u32 s12, s19, ttmp9
	s_wait_alu 0xfffe
	s_cselect_b32 s55, s15, s14
	s_add_co_i32 s12, ttmp9, s12
	v_lshrrev_b32_e32 v6, s22, v2
	s_lshr_b32 s59, s12, s63
	s_load_b32 s12, s[0:1], 0x27c
	s_mul_hi_u32 s13, s59, s18
	v_mul_hi_u32 v1, v4, s65
	s_add_co_i32 s13, s59, s13
	v_mul_hi_u32 v2, v6, s65
	s_lshr_b32 s63, s13, s62
	s_delay_alu instid0(SALU_CYCLE_1)
	s_mul_hi_u32 s13, s63, s17
	s_mul_i32 s14, s63, s30
	s_add_co_i32 s13, s63, s13
	s_wait_alu 0xfffe
	s_sub_co_i32 s14, s59, s14
	s_lshr_b32 s70, s13, s61
	v_add_nc_u32_e32 v1, v4, v1
	s_mul_hi_u32 s13, s70, s16
	v_add_nc_u32_e32 v2, v6, v2
	s_add_co_i32 s13, s70, s13
	s_mul_i32 s59, s59, s31
	s_lshr_b32 s13, s13, s60
	s_load_b96 s[60:62], s[0:1], 0xd8
	s_mul_i32 s13, s13, s28
	v_lshrrev_b32_e32 v7, s21, v1
	s_sub_co_i32 s13, s70, s13
	v_mul_lo_u32 v1, v4, s54
	s_wait_kmcnt 0x0
	s_mul_i32 s13, s13, s12
	v_lshrrev_b32_e32 v8, s21, v2
	s_add_co_i32 s14, s14, s13
	v_mul_hi_u32 v2, v7, s64
	s_wait_alu 0xfffe
	s_lshl_b32 s30, s14, 7
	v_mul_lo_u32 v5, v7, s53
	v_or_b32_e32 v29, s30, v28
	v_sub_nc_u32_e32 v1, v26, v1
	v_mul_hi_u32 v9, v8, s64
	s_mul_i32 s70, s70, s29
	s_delay_alu instid0(VALU_DEP_3)
	v_mul_hi_u32 v3, v29, s38
	v_add_nc_u32_e32 v11, v7, v2
	v_mul_lo_u32 v13, v1, s33
	s_clause 0x8
	s_load_b32 s22, s[0:1], 0x160
	s_load_b32 s21, s[0:1], 0x170
	;; [unrolled: 1-line block ×6, first 2 shown]
	s_load_b64 s[34:35], s[0:1], 0x1d0
	s_load_b32 s28, s[0:1], 0x1dc
	s_load_b256 s[12:19], s[0:1], 0x2d8
	s_sub_co_i32 s29, s63, s70
	v_add_nc_u32_e32 v9, v8, v9
	v_lshrrev_b32_e32 v11, s20, v11
	s_mul_i32 s29, s29, s71
	v_add_nc_u32_e32 v10, v29, v3
	v_mad_co_u64_u32 v[2:3], null, v6, s54, v[1:2]
	v_sub_nc_u32_e32 v3, v4, v5
	v_mul_lo_u32 v12, v11, s52
	s_delay_alu instid0(VALU_DEP_4) | instskip(SKIP_3) | instid1(VALU_DEP_3)
	v_lshrrev_b32_e32 v10, s62, v10
	v_lshrrev_b32_e32 v9, s20, v9
	s_xor_b32 s20, s55, s49
	v_mad_co_u64_u32 v[4:5], null, v8, s53, v[3:4]
	v_mul_hi_u32 v5, v10, s37
	v_sub_nc_u32_e32 v2, v27, v2
	v_sub_nc_u32_e32 v1, v7, v12
	v_mul_lo_u32 v7, v10, s58
	v_sub_nc_u32_e32 v14, v9, v11
	s_wait_kmcnt 0x0
	v_mul_lo_u32 v20, s73, v25
	v_sub_nc_u32_e32 v4, v6, v4
	v_mul_lo_u32 v15, v2, s33
	v_add_nc_u32_e32 v5, v10, v5
	v_mul_lo_u32 v30, v14, s68
	s_sub_co_i32 s33, s44, s46
	v_mul_lo_u32 v31, v4, s66
	s_delay_alu instid0(VALU_DEP_3) | instskip(SKIP_3) | instid1(VALU_DEP_4)
	v_lshrrev_b32_e32 v6, s61, v5
	v_mad_co_u64_u32 v[4:5], null, v9, s52, v[1:2]
	v_mul_lo_u32 v2, v3, s66
	v_mul_lo_u32 v3, v11, s68
	v_mul_hi_u32 v5, v6, s36
	v_mul_lo_u32 v1, v1, s2
	s_wait_alu 0xfffe
	s_sub_co_i32 s52, s20, s49
	s_sub_co_i32 s20, ttmp9, s59
	v_sub_nc_u32_e32 v4, v8, v4
	v_mul_lo_u32 v8, v6, s57
	s_wait_alu 0xfffe
	s_add_co_i32 s20, s20, s29
	s_ashr_i32 s53, s52, 31
	v_add_nc_u32_e32 v5, v6, v5
	s_wait_alu 0xfffe
	s_lshl_b32 s31, s20, 7
	s_mul_u64 s[14:15], s[14:15], s[52:53]
	s_wait_alu 0xfffe
	v_or_b32_e32 v32, s31, v28
	s_add_nc_u64 s[36:37], s[6:7], s[14:15]
	v_lshrrev_b32_e32 v9, s60, v5
	v_sub_nc_u32_e32 v5, v29, v7
	v_sub_nc_u32_e32 v8, v10, v8
	v_mul_lo_u32 v12, v30, s25
	v_mul_lo_u32 v14, v31, s27
	;; [unrolled: 1-line block ×3, first 2 shown]
	v_mad_co_u64_u32 v[21:22], null, v5, s67, v[2:3]
	v_mad_co_u64_u32 v[22:23], null, v8, s3, v[1:2]
	v_mul_lo_u32 v16, v9, s24
	s_wait_alu 0xfffe
	s_and_b32 s37, s37, 0xffff
	s_lshl_b32 s6, s73, 2
	s_delay_alu instid0(VALU_DEP_4) | instskip(NEXT) | instid1(VALU_DEP_4)
	v_sub_nc_u32_e32 v5, v6, v7
	v_mad_co_u64_u32 v[1:2], null, v32, s21, v[20:21]
	v_subrev_nc_u32_e32 v2, s45, v21
	s_sub_co_i32 s15, s48, s50
	s_delay_alu instid0(VALU_DEP_3) | instskip(SKIP_1) | instid1(VALU_DEP_3)
	v_mad_co_u64_u32 v[23:24], null, v5, s69, v[3:4]
	v_subrev_nc_u32_e32 v3, s41, v22
	v_mul_lo_u32 v2, v2, s27
	v_mul_lo_u32 v24, v4, s2
	buffer_load_b128 v[4:7], v1, s[36:39], null offen
	v_add_nc_u32_e32 v1, s6, v1
	v_mul_lo_u32 v3, v3, s26
	v_subrev_nc_u32_e32 v8, s43, v23
	s_mul_u64 s[2:3], s[12:13], s[52:53]
	v_add_nc_u32_e32 v26, s6, v20
	s_wait_alu 0xfffe
	s_add_nc_u64 s[20:21], s[4:5], s[2:3]
	v_cmp_gt_i32_e64 s3, s15, v21
	v_mul_lo_u32 v17, v8, s25
	buffer_load_b128 v[8:11], v1, s[36:39], null offen
	v_add3_u32 v2, v2, v13, v3
	v_mul_lo_u32 v3, v24, s26
	v_add3_u32 v1, v14, v15, v12
	s_and_b32 s21, s21, 0xffff
	s_mul_u64 s[4:5], s[16:17], s[52:53]
	s_mul_u64 s[6:7], s[18:19], s[52:53]
	v_add3_u32 v2, v2, v16, v17
	s_wait_alu 0xfffe
	s_add_nc_u64 s[12:13], s[8:9], s[4:5]
	s_and_b32 s9, s3, vcc_lo
	v_cmp_gt_i32_e64 s4, s65, v32
	s_sub_co_i32 s36, s40, s42
	v_add3_u32 v1, v1, v3, v2
	v_cmp_gt_i32_e64 s8, s33, v22
	v_cmp_gt_i32_e64 s2, s72, v26
	s_clause 0x1
	buffer_load_b128 v[12:15], v2, s[20:23], null offen
	buffer_load_b128 v[16:19], v1, s[20:23], null offen
	s_clause 0x5
	s_load_b32 s29, s[0:1], 0x1e8
	s_load_b32 s14, s[0:1], 0x210
	s_load_b64 s[24:25], s[0:1], 0x220
	s_load_b32 s26, s[0:1], 0x22c
	s_load_b32 s27, s[0:1], 0x238
	;; [unrolled: 1-line block ×3, first 2 shown]
	v_cmp_gt_i32_e64 s1, s72, v20
	v_add_nc_u32_e32 v20, v21, v31
	v_cmp_gt_i32_e64 s0, s51, v27
	s_add_nc_u64 s[20:21], s[10:11], s[6:7]
	v_cmp_le_i32_e64 s6, s45, v21
	v_cmp_le_i32_e64 s7, s41, v22
	v_cmp_gt_i32_e32 vcc_lo, s15, v20
	v_cmp_le_i32_e64 s3, s45, v20
	v_add_nc_u32_e32 v20, v22, v24
	v_lshlrev_b32_e32 v28, 2, v28
	s_and_b32 s9, s9, s6
	s_and_b32 s0, vcc_lo, s0
	v_add_nc_u32_e32 v21, v23, v30
	s_and_b32 s10, s0, s3
	v_cmp_le_i32_e32 vcc_lo, s41, v20
	v_cmp_gt_i32_e64 s0, s33, v20
	v_cmp_le_i32_e64 s3, s43, v23
	v_cmp_gt_i32_e64 s6, s36, v23
	s_and_b32 s7, s7, s8
	v_cmp_gt_i32_e64 s5, s47, v29
	s_and_b32 s0, vcc_lo, s0
	s_and_b32 vcc_lo, s1, s4
	s_wait_alu 0xfffe
	s_and_b32 s9, s9, s7
	v_cmp_le_i32_e64 s7, s43, v21
	v_cmp_gt_i32_e64 s8, s36, v21
	s_and_b32 s3, s3, s6
	v_lshrrev_b32_e32 v1, 5, v0
	s_wait_alu 0xfffe
	s_and_b32 s3, s9, s3
	s_and_b32 s0, s10, s0
	;; [unrolled: 1-line block ×4, first 2 shown]
	s_wait_alu 0xfffe
	s_and_b32 s0, s0, s6
	v_lshlrev_b32_e32 v3, 6, v1
	v_lshlrev_b32_e32 v1, 3, v1
	s_mov_b32 s15, s23
	s_and_b32 s21, s21, 0xffff
	s_wait_loadcnt 0x3
	v_dual_cndmask_b32 v5, 0, v5 :: v_dual_cndmask_b32 v4, 0, v4
	v_lshl_or_b32 v25, v25, 9, v28
	v_dual_cndmask_b32 v7, 0, v7 :: v_dual_cndmask_b32 v6, 0, v6
	s_and_b32 vcc_lo, s2, s4
	ds_store_2addr_stride64_b32 v25, v4, v5 offset0:64 offset1:66
	ds_store_2addr_stride64_b32 v25, v6, v7 offset0:68 offset1:70
	s_wait_loadcnt 0x2
	s_wait_alu 0xfffe
	v_cndmask_b32_e32 v11, 0, v11, vcc_lo
	v_dual_cndmask_b32 v9, 0, v9 :: v_dual_cndmask_b32 v8, 0, v8
	v_cndmask_b32_e32 v4, 0, v10, vcc_lo
	s_and_b32 vcc_lo, s5, s3
	v_lshlrev_b32_e32 v2, 1, v0
	v_lshlrev_b32_e32 v0, 2, v0
	ds_store_2addr_stride64_b32 v25, v8, v9 offset0:72 offset1:74
	s_lshl_b32 s2, s35, 7
	s_wait_kmcnt 0x0
	s_lshl_b32 s3, s25, 6
	s_wait_loadcnt 0x1
	s_wait_alu 0xfffe
	v_dual_cndmask_b32 v5, 0, v15 :: v_dual_cndmask_b32 v6, 0, v14
	v_dual_cndmask_b32 v7, 0, v13 :: v_dual_cndmask_b32 v8, 0, v12
	s_and_b32 vcc_lo, s5, s0
	s_wait_loadcnt 0x0
	s_wait_alu 0xfffe
	v_dual_cndmask_b32 v10, 0, v17 :: v_dual_and_b32 v33, 0x1f8, v2
	v_dual_cndmask_b32 v12, 0, v16 :: v_dual_cndmask_b32 v9, 0, v19
	v_cndmask_b32_e32 v13, 0, v18, vcc_lo
	s_delay_alu instid0(VALU_DEP_3)
	v_sub_nc_u32_e32 v33, v33, v3
	v_and_or_b32 v3, v2, 4, v1
	ds_store_2addr_stride64_b32 v25, v4, v11 offset0:76 offset1:78
	ds_store_2addr_stride64_b32 v25, v8, v7 offset1:2
	ds_store_2addr_stride64_b32 v25, v6, v5 offset0:4 offset1:6
	ds_store_2addr_stride64_b32 v25, v12, v10 offset0:8 offset1:10
	ds_store_2addr_stride64_b32 v25, v13, v9 offset0:12 offset1:14
	s_wait_dscnt 0x0
	s_barrier_signal -1
	v_and_or_b32 v2, v0, 4, v33
	v_lshlrev_b32_e32 v0, 2, v3
	s_barrier_wait -1
	global_inv scope:SCOPE_SE
	v_or_b32_e32 v3, s30, v3
	v_lshlrev_b32_e32 v1, 2, v2
	ds_load_b128 v[4:7], v0
	ds_load_b128 v[8:11], v1 offset:16384
	ds_load_b128 v[12:15], v1 offset:16640
	;; [unrolled: 1-line block ×20, first 2 shown]
	s_wait_dscnt 0x13
	v_dot4_i32_iu8 v88, v4, v8, 0 neg_lo:[1,1,0]
	v_dot4_i32_iu8 v89, v4, v9, 0 neg_lo:[1,1,0]
	v_dot4_i32_iu8 v90, v4, v10, 0 neg_lo:[1,1,0]
	v_dot4_i32_iu8 v91, v4, v11, 0 neg_lo:[1,1,0]
	v_dot4_i32_iu8 v92, v5, v8, 0 neg_lo:[1,1,0]
	v_dot4_i32_iu8 v93, v5, v9, 0 neg_lo:[1,1,0]
	v_dot4_i32_iu8 v94, v5, v10, 0 neg_lo:[1,1,0]
	v_dot4_i32_iu8 v95, v5, v11, 0 neg_lo:[1,1,0]
	v_dot4_i32_iu8 v96, v6, v8, 0 neg_lo:[1,1,0]
	v_dot4_i32_iu8 v97, v6, v9, 0 neg_lo:[1,1,0]
	v_dot4_i32_iu8 v98, v6, v10, 0 neg_lo:[1,1,0]
	v_dot4_i32_iu8 v99, v6, v11, 0 neg_lo:[1,1,0]
	v_dot4_i32_iu8 v100, v7, v8, 0 neg_lo:[1,1,0]
	v_dot4_i32_iu8 v101, v7, v9, 0 neg_lo:[1,1,0]
	v_dot4_i32_iu8 v102, v7, v10, 0 neg_lo:[1,1,0]
	v_dot4_i32_iu8 v103, v7, v11, 0 neg_lo:[1,1,0]
	s_wait_dscnt 0x12
	v_dot4_i32_iu8 v104, v4, v12, 0 neg_lo:[1,1,0]
	v_dot4_i32_iu8 v105, v4, v13, 0 neg_lo:[1,1,0]
	v_dot4_i32_iu8 v106, v4, v14, 0 neg_lo:[1,1,0]
	v_dot4_i32_iu8 v4, v4, v15, 0 neg_lo:[1,1,0]
	v_dot4_i32_iu8 v107, v5, v12, 0 neg_lo:[1,1,0]
	v_dot4_i32_iu8 v108, v5, v13, 0 neg_lo:[1,1,0]
	v_dot4_i32_iu8 v109, v5, v14, 0 neg_lo:[1,1,0]
	v_dot4_i32_iu8 v5, v5, v15, 0 neg_lo:[1,1,0]
	v_dot4_i32_iu8 v110, v6, v12, 0 neg_lo:[1,1,0]
	v_dot4_i32_iu8 v111, v6, v13, 0 neg_lo:[1,1,0]
	v_dot4_i32_iu8 v112, v6, v14, 0 neg_lo:[1,1,0]
	v_dot4_i32_iu8 v6, v6, v15, 0 neg_lo:[1,1,0]
	v_dot4_i32_iu8 v113, v7, v12, 0 neg_lo:[1,1,0]
	v_dot4_i32_iu8 v114, v7, v13, 0 neg_lo:[1,1,0]
	v_dot4_i32_iu8 v115, v7, v14, 0 neg_lo:[1,1,0]
	v_dot4_i32_iu8 v7, v7, v15, 0 neg_lo:[1,1,0]
	;; [unrolled: 17-line block ×3, first 2 shown]
	v_dot4_i32_iu8 v128, v16, v12, 0 neg_lo:[1,1,0]
	v_dot4_i32_iu8 v129, v16, v13, 0 neg_lo:[1,1,0]
	v_dot4_i32_iu8 v130, v16, v14, 0 neg_lo:[1,1,0]
	v_dot4_i32_iu8 v16, v16, v15, 0 neg_lo:[1,1,0]
	v_dot4_i32_iu8 v131, v17, v12, 0 neg_lo:[1,1,0]
	v_dot4_i32_iu8 v132, v17, v13, 0 neg_lo:[1,1,0]
	v_dot4_i32_iu8 v133, v17, v14, 0 neg_lo:[1,1,0]
	v_dot4_i32_iu8 v17, v17, v15, 0 neg_lo:[1,1,0]
	v_dot4_i32_iu8 v134, v18, v12, 0 neg_lo:[1,1,0]
	v_dot4_i32_iu8 v135, v18, v13, 0 neg_lo:[1,1,0]
	v_dot4_i32_iu8 v136, v18, v14, 0 neg_lo:[1,1,0]
	v_dot4_i32_iu8 v18, v18, v15, 0 neg_lo:[1,1,0]
	v_dot4_i32_iu8 v12, v19, v12, 0 neg_lo:[1,1,0]
	v_dot4_i32_iu8 v13, v19, v13, 0 neg_lo:[1,1,0]
	v_dot4_i32_iu8 v14, v19, v14, 0 neg_lo:[1,1,0]
	v_dot4_i32_iu8 v15, v19, v15, 0 neg_lo:[1,1,0]
	s_wait_dscnt 0xe
	v_dot4_i32_iu8 v19, v28, v20, v88 neg_lo:[1,1,0]
	v_dot4_i32_iu8 v88, v28, v21, v89 neg_lo:[1,1,0]
	v_dot4_i32_iu8 v89, v28, v22, v90 neg_lo:[1,1,0]
	v_dot4_i32_iu8 v90, v28, v23, v91 neg_lo:[1,1,0]
	v_dot4_i32_iu8 v91, v29, v20, v92 neg_lo:[1,1,0]
	v_dot4_i32_iu8 v92, v29, v21, v93 neg_lo:[1,1,0]
	v_dot4_i32_iu8 v93, v29, v22, v94 neg_lo:[1,1,0]
	v_dot4_i32_iu8 v94, v29, v23, v95 neg_lo:[1,1,0]
	v_dot4_i32_iu8 v95, v30, v20, v96 neg_lo:[1,1,0]
	v_dot4_i32_iu8 v96, v30, v21, v97 neg_lo:[1,1,0]
	v_dot4_i32_iu8 v97, v30, v22, v98 neg_lo:[1,1,0]
	v_dot4_i32_iu8 v98, v30, v23, v99 neg_lo:[1,1,0]
	v_dot4_i32_iu8 v99, v31, v20, v100 neg_lo:[1,1,0]
	v_dot4_i32_iu8 v100, v31, v21, v101 neg_lo:[1,1,0]
	v_dot4_i32_iu8 v101, v31, v22, v102 neg_lo:[1,1,0]
	v_dot4_i32_iu8 v102, v31, v23, v103 neg_lo:[1,1,0]
	v_dot4_i32_iu8 v103, v28, v24, v104 neg_lo:[1,1,0]
	v_dot4_i32_iu8 v104, v28, v25, v105 neg_lo:[1,1,0]
	v_dot4_i32_iu8 v105, v28, v26, v106 neg_lo:[1,1,0]
	v_dot4_i32_iu8 v4, v28, v27, v4 neg_lo:[1,1,0]
	v_dot4_i32_iu8 v28, v29, v24, v107 neg_lo:[1,1,0]
	v_dot4_i32_iu8 v106, v29, v25, v108 neg_lo:[1,1,0]
	v_dot4_i32_iu8 v107, v29, v26, v109 neg_lo:[1,1,0]
	v_dot4_i32_iu8 v5, v29, v27, v5 neg_lo:[1,1,0]
	v_dot4_i32_iu8 v29, v30, v24, v110 neg_lo:[1,1,0]
	v_dot4_i32_iu8 v108, v30, v25, v111 neg_lo:[1,1,0]
	v_dot4_i32_iu8 v109, v30, v26, v112 neg_lo:[1,1,0]
	v_dot4_i32_iu8 v6, v30, v27, v6 neg_lo:[1,1,0]
	v_dot4_i32_iu8 v30, v31, v24, v113 neg_lo:[1,1,0]
	v_dot4_i32_iu8 v110, v31, v25, v114 neg_lo:[1,1,0]
	v_dot4_i32_iu8 v111, v31, v26, v115 neg_lo:[1,1,0]
	v_dot4_i32_iu8 v7, v31, v27, v7 neg_lo:[1,1,0]
	s_wait_dscnt 0xd
	v_dot4_i32_iu8 v31, v32, v20, v116 neg_lo:[1,1,0]
	v_dot4_i32_iu8 v112, v32, v21, v117 neg_lo:[1,1,0]
	v_dot4_i32_iu8 v113, v32, v22, v118 neg_lo:[1,1,0]
	v_dot4_i32_iu8 v114, v32, v23, v119 neg_lo:[1,1,0]
	v_dot4_i32_iu8 v115, v33, v20, v120 neg_lo:[1,1,0]
	v_dot4_i32_iu8 v116, v33, v21, v121 neg_lo:[1,1,0]
	v_dot4_i32_iu8 v117, v33, v22, v122 neg_lo:[1,1,0]
	v_dot4_i32_iu8 v118, v33, v23, v123 neg_lo:[1,1,0]
	v_dot4_i32_iu8 v119, v34, v20, v124 neg_lo:[1,1,0]
	v_dot4_i32_iu8 v120, v34, v21, v125 neg_lo:[1,1,0]
	v_dot4_i32_iu8 v121, v34, v22, v126 neg_lo:[1,1,0]
	v_dot4_i32_iu8 v122, v34, v23, v127 neg_lo:[1,1,0]
	v_dot4_i32_iu8 v8, v35, v20, v8 neg_lo:[1,1,0]
	v_dot4_i32_iu8 v9, v35, v21, v9 neg_lo:[1,1,0]
	v_dot4_i32_iu8 v10, v35, v22, v10 neg_lo:[1,1,0]
	v_dot4_i32_iu8 v11, v35, v23, v11 neg_lo:[1,1,0]
	;; [unrolled: 33-line block ×7, first 2 shown]
	v_dot4_i32_iu8 v52, v76, v72, v88 neg_lo:[1,1,0]
	v_dot4_i32_iu8 v53, v76, v73, v89 neg_lo:[1,1,0]
	;; [unrolled: 1-line block ×16, first 2 shown]
	s_wait_dscnt 0x1
	v_dot4_i32_iu8 v31, v80, v68, v31 neg_lo:[1,1,0]
	v_dot4_i32_iu8 v47, v80, v69, v47 neg_lo:[1,1,0]
	;; [unrolled: 1-line block ×15, first 2 shown]
	ds_load_b128 v[4:7], v1 offset:18944
	v_dot4_i32_iu8 v71, v83, v71, v11 neg_lo:[1,1,0]
	v_dot4_i32_iu8 v88, v80, v72, v20 neg_lo:[1,1,0]
	;; [unrolled: 1-line block ×15, first 2 shown]
	ds_load_b128 v[8:11], v1 offset:19200
	v_dot4_i32_iu8 v74, v83, v74, v14 neg_lo:[1,1,0]
	v_dot4_i32_iu8 v75, v83, v75, v15 neg_lo:[1,1,0]
	ds_load_b128 v[12:15], v0 offset:2816
	s_wait_dscnt 0x2
	v_dot4_i32_iu8 v83, v84, v4, v19 neg_lo:[1,1,0]
	v_dot4_i32_iu8 v24, v84, v5, v24 neg_lo:[1,1,0]
	;; [unrolled: 1-line block ×16, first 2 shown]
	s_wait_dscnt 0x1
	v_dot4_i32_iu8 v52, v84, v8, v52 neg_lo:[1,1,0]
	v_dot4_i32_iu8 v53, v84, v9, v53 neg_lo:[1,1,0]
	;; [unrolled: 1-line block ×16, first 2 shown]
	ds_load_b128 v[16:19], v0 offset:3072
	s_wait_dscnt 0x1
	v_dot4_i32_iu8 v31, v12, v4, v31 neg_lo:[1,1,0]
	v_dot4_i32_iu8 v47, v12, v5, v47 neg_lo:[1,1,0]
	;; [unrolled: 1-line block ×15, first 2 shown]
	ds_load_b128 v[20:23], v1 offset:19456
	v_dot4_i32_iu8 v71, v15, v7, v71 neg_lo:[1,1,0]
	v_dot4_i32_iu8 v84, v12, v8, v88 neg_lo:[1,1,0]
	;; [unrolled: 1-line block ×15, first 2 shown]
	ds_load_b128 v[4:7], v1 offset:19712
	v_dot4_i32_iu8 v74, v15, v10, v74 neg_lo:[1,1,0]
	v_dot4_i32_iu8 v75, v15, v11, v75 neg_lo:[1,1,0]
	ds_load_b128 v[8:11], v0 offset:3328
	ds_load_b128 v[12:15], v0 offset:3584
	s_wait_dscnt 0x3
	v_dot4_i32_iu8 v83, v16, v20, v83 neg_lo:[1,1,0]
	v_dot4_i32_iu8 v24, v16, v21, v24 neg_lo:[1,1,0]
	;; [unrolled: 1-line block ×16, first 2 shown]
	s_wait_dscnt 0x2
	v_dot4_i32_iu8 v52, v16, v4, v52 neg_lo:[1,1,0]
	v_dot4_i32_iu8 v53, v16, v5, v53 neg_lo:[1,1,0]
	;; [unrolled: 1-line block ×16, first 2 shown]
	s_wait_dscnt 0x1
	v_dot4_i32_iu8 v31, v8, v20, v31 neg_lo:[1,1,0]
	v_dot4_i32_iu8 v47, v8, v21, v47 neg_lo:[1,1,0]
	v_dot4_i32_iu8 v62, v8, v22, v62 neg_lo:[1,1,0]
	v_dot4_i32_iu8 v63, v8, v23, v63 neg_lo:[1,1,0]
	v_dot4_i32_iu8 v64, v9, v20, v64 neg_lo:[1,1,0]
	v_dot4_i32_iu8 v65, v9, v21, v65 neg_lo:[1,1,0]
	v_dot4_i32_iu8 v66, v9, v22, v66 neg_lo:[1,1,0]
	v_dot4_i32_iu8 v67, v9, v23, v67 neg_lo:[1,1,0]
	v_dot4_i32_iu8 v76, v10, v20, v76 neg_lo:[1,1,0]
	v_dot4_i32_iu8 v77, v10, v21, v77 neg_lo:[1,1,0]
	v_dot4_i32_iu8 v78, v10, v22, v78 neg_lo:[1,1,0]
	v_dot4_i32_iu8 v79, v10, v23, v79 neg_lo:[1,1,0]
	v_dot4_i32_iu8 v68, v11, v20, v68 neg_lo:[1,1,0]
	v_dot4_i32_iu8 v69, v11, v21, v69 neg_lo:[1,1,0]
	v_dot4_i32_iu8 v70, v11, v22, v70 neg_lo:[1,1,0]
	ds_load_b128 v[16:19], v1 offset:19968
	v_dot4_i32_iu8 v71, v11, v23, v71 neg_lo:[1,1,0]
	v_dot4_i32_iu8 v84, v8, v4, v84 neg_lo:[1,1,0]
	;; [unrolled: 1-line block ×15, first 2 shown]
	ds_load_b128 v[20:23], v1 offset:20224
	v_dot4_i32_iu8 v74, v11, v6, v74 neg_lo:[1,1,0]
	v_dot4_i32_iu8 v75, v11, v7, v75 neg_lo:[1,1,0]
	ds_load_b128 v[4:7], v0 offset:3840
	ds_load_b128 v[8:11], v0 offset:4096
	s_wait_dscnt 0x3
	v_dot4_i32_iu8 v83, v12, v16, v83 neg_lo:[1,1,0]
	v_dot4_i32_iu8 v24, v12, v17, v24 neg_lo:[1,1,0]
	;; [unrolled: 1-line block ×16, first 2 shown]
	s_wait_dscnt 0x2
	v_dot4_i32_iu8 v52, v12, v20, v52 neg_lo:[1,1,0]
	v_dot4_i32_iu8 v53, v12, v21, v53 neg_lo:[1,1,0]
	;; [unrolled: 1-line block ×16, first 2 shown]
	s_wait_dscnt 0x1
	v_dot4_i32_iu8 v31, v4, v16, v31 neg_lo:[1,1,0]
	v_dot4_i32_iu8 v47, v4, v17, v47 neg_lo:[1,1,0]
	;; [unrolled: 1-line block ×15, first 2 shown]
	ds_load_b128 v[12:15], v1 offset:20480
	v_dot4_i32_iu8 v71, v7, v19, v71 neg_lo:[1,1,0]
	v_dot4_i32_iu8 v84, v4, v20, v84 neg_lo:[1,1,0]
	;; [unrolled: 1-line block ×15, first 2 shown]
	ds_load_b128 v[16:19], v1 offset:20736
	v_dot4_i32_iu8 v74, v7, v22, v74 neg_lo:[1,1,0]
	v_dot4_i32_iu8 v75, v7, v23, v75 neg_lo:[1,1,0]
	ds_load_b128 v[4:7], v0 offset:4352
	s_wait_dscnt 0x2
	v_dot4_i32_iu8 v83, v8, v12, v83 neg_lo:[1,1,0]
	v_dot4_i32_iu8 v24, v8, v13, v24 neg_lo:[1,1,0]
	;; [unrolled: 1-line block ×16, first 2 shown]
	s_wait_dscnt 0x1
	v_dot4_i32_iu8 v52, v8, v16, v52 neg_lo:[1,1,0]
	v_dot4_i32_iu8 v53, v8, v17, v53 neg_lo:[1,1,0]
	;; [unrolled: 1-line block ×16, first 2 shown]
	ds_load_b128 v[8:11], v0 offset:4608
	s_wait_dscnt 0x1
	v_dot4_i32_iu8 v31, v4, v12, v31 neg_lo:[1,1,0]
	v_dot4_i32_iu8 v47, v4, v13, v47 neg_lo:[1,1,0]
	v_dot4_i32_iu8 v62, v4, v14, v62 neg_lo:[1,1,0]
	v_dot4_i32_iu8 v63, v4, v15, v63 neg_lo:[1,1,0]
	v_dot4_i32_iu8 v64, v5, v12, v64 neg_lo:[1,1,0]
	v_dot4_i32_iu8 v65, v5, v13, v65 neg_lo:[1,1,0]
	v_dot4_i32_iu8 v66, v5, v14, v66 neg_lo:[1,1,0]
	v_dot4_i32_iu8 v67, v5, v15, v67 neg_lo:[1,1,0]
	v_dot4_i32_iu8 v76, v6, v12, v76 neg_lo:[1,1,0]
	v_dot4_i32_iu8 v77, v6, v13, v77 neg_lo:[1,1,0]
	v_dot4_i32_iu8 v78, v6, v14, v78 neg_lo:[1,1,0]
	v_dot4_i32_iu8 v79, v6, v15, v79 neg_lo:[1,1,0]
	v_dot4_i32_iu8 v68, v7, v12, v68 neg_lo:[1,1,0]
	v_dot4_i32_iu8 v69, v7, v13, v69 neg_lo:[1,1,0]
	v_dot4_i32_iu8 v70, v7, v14, v70 neg_lo:[1,1,0]
	ds_load_b128 v[20:23], v1 offset:20992
	v_dot4_i32_iu8 v71, v7, v15, v71 neg_lo:[1,1,0]
	v_dot4_i32_iu8 v84, v4, v16, v84 neg_lo:[1,1,0]
	;; [unrolled: 1-line block ×15, first 2 shown]
	ds_load_b128 v[12:15], v1 offset:21248
	v_dot4_i32_iu8 v74, v7, v18, v74 neg_lo:[1,1,0]
	v_dot4_i32_iu8 v75, v7, v19, v75 neg_lo:[1,1,0]
	ds_load_b128 v[4:7], v0 offset:4864
	s_wait_dscnt 0x2
	v_dot4_i32_iu8 v83, v8, v20, v83 neg_lo:[1,1,0]
	v_dot4_i32_iu8 v24, v8, v21, v24 neg_lo:[1,1,0]
	v_dot4_i32_iu8 v25, v8, v22, v25 neg_lo:[1,1,0]
	v_dot4_i32_iu8 v26, v8, v23, v26 neg_lo:[1,1,0]
	v_dot4_i32_iu8 v27, v9, v20, v27 neg_lo:[1,1,0]
	v_dot4_i32_iu8 v34, v9, v21, v34 neg_lo:[1,1,0]
	v_dot4_i32_iu8 v35, v9, v22, v35 neg_lo:[1,1,0]
	v_dot4_i32_iu8 v39, v9, v23, v39 neg_lo:[1,1,0]
	v_dot4_i32_iu8 v40, v10, v20, v40 neg_lo:[1,1,0]
	v_dot4_i32_iu8 v41, v10, v21, v41 neg_lo:[1,1,0]
	v_dot4_i32_iu8 v42, v10, v22, v42 neg_lo:[1,1,0]
	v_dot4_i32_iu8 v43, v10, v23, v43 neg_lo:[1,1,0]
	v_dot4_i32_iu8 v48, v11, v20, v48 neg_lo:[1,1,0]
	v_dot4_i32_iu8 v49, v11, v21, v49 neg_lo:[1,1,0]
	v_dot4_i32_iu8 v50, v11, v22, v50 neg_lo:[1,1,0]
	v_dot4_i32_iu8 v51, v11, v23, v51 neg_lo:[1,1,0]
	s_wait_dscnt 0x1
	v_dot4_i32_iu8 v52, v8, v12, v52 neg_lo:[1,1,0]
	v_dot4_i32_iu8 v53, v8, v13, v53 neg_lo:[1,1,0]
	;; [unrolled: 1-line block ×16, first 2 shown]
	ds_load_b128 v[8:11], v0 offset:5120
	s_wait_dscnt 0x1
	v_dot4_i32_iu8 v31, v4, v20, v31 neg_lo:[1,1,0]
	v_dot4_i32_iu8 v47, v4, v21, v47 neg_lo:[1,1,0]
	;; [unrolled: 1-line block ×15, first 2 shown]
	ds_load_b128 v[16:19], v1 offset:21504
	v_dot4_i32_iu8 v71, v7, v23, v71 neg_lo:[1,1,0]
	v_dot4_i32_iu8 v84, v4, v12, v84 neg_lo:[1,1,0]
	;; [unrolled: 1-line block ×15, first 2 shown]
	ds_load_b128 v[20:23], v1 offset:21760
	v_dot4_i32_iu8 v74, v7, v14, v74 neg_lo:[1,1,0]
	v_dot4_i32_iu8 v75, v7, v15, v75 neg_lo:[1,1,0]
	ds_load_b128 v[4:7], v0 offset:5376
	s_wait_dscnt 0x2
	v_dot4_i32_iu8 v83, v8, v16, v83 neg_lo:[1,1,0]
	v_dot4_i32_iu8 v24, v8, v17, v24 neg_lo:[1,1,0]
	v_dot4_i32_iu8 v25, v8, v18, v25 neg_lo:[1,1,0]
	v_dot4_i32_iu8 v26, v8, v19, v26 neg_lo:[1,1,0]
	v_dot4_i32_iu8 v27, v9, v16, v27 neg_lo:[1,1,0]
	v_dot4_i32_iu8 v34, v9, v17, v34 neg_lo:[1,1,0]
	v_dot4_i32_iu8 v35, v9, v18, v35 neg_lo:[1,1,0]
	v_dot4_i32_iu8 v39, v9, v19, v39 neg_lo:[1,1,0]
	v_dot4_i32_iu8 v40, v10, v16, v40 neg_lo:[1,1,0]
	v_dot4_i32_iu8 v41, v10, v17, v41 neg_lo:[1,1,0]
	v_dot4_i32_iu8 v42, v10, v18, v42 neg_lo:[1,1,0]
	v_dot4_i32_iu8 v43, v10, v19, v43 neg_lo:[1,1,0]
	v_dot4_i32_iu8 v48, v11, v16, v48 neg_lo:[1,1,0]
	v_dot4_i32_iu8 v49, v11, v17, v49 neg_lo:[1,1,0]
	v_dot4_i32_iu8 v50, v11, v18, v50 neg_lo:[1,1,0]
	v_dot4_i32_iu8 v51, v11, v19, v51 neg_lo:[1,1,0]
	s_wait_dscnt 0x1
	v_dot4_i32_iu8 v52, v8, v20, v52 neg_lo:[1,1,0]
	v_dot4_i32_iu8 v53, v8, v21, v53 neg_lo:[1,1,0]
	v_dot4_i32_iu8 v54, v8, v22, v54 neg_lo:[1,1,0]
	v_dot4_i32_iu8 v55, v8, v23, v55 neg_lo:[1,1,0]
	v_dot4_i32_iu8 v28, v9, v20, v28 neg_lo:[1,1,0]
	v_dot4_i32_iu8 v44, v9, v21, v44 neg_lo:[1,1,0]
	v_dot4_i32_iu8 v56, v9, v22, v56 neg_lo:[1,1,0]
	v_dot4_i32_iu8 v57, v9, v23, v57 neg_lo:[1,1,0]
	v_dot4_i32_iu8 v29, v10, v20, v29 neg_lo:[1,1,0]
	v_dot4_i32_iu8 v45, v10, v21, v45 neg_lo:[1,1,0]
	v_dot4_i32_iu8 v58, v10, v22, v58 neg_lo:[1,1,0]
	v_dot4_i32_iu8 v59, v10, v23, v59 neg_lo:[1,1,0]
	v_dot4_i32_iu8 v30, v11, v20, v30 neg_lo:[1,1,0]
	v_dot4_i32_iu8 v46, v11, v21, v46 neg_lo:[1,1,0]
	v_dot4_i32_iu8 v60, v11, v22, v60 neg_lo:[1,1,0]
	v_dot4_i32_iu8 v61, v11, v23, v61 neg_lo:[1,1,0]
	ds_load_b128 v[8:11], v0 offset:5632
	s_wait_dscnt 0x1
	v_dot4_i32_iu8 v31, v4, v16, v31 neg_lo:[1,1,0]
	v_dot4_i32_iu8 v47, v4, v17, v47 neg_lo:[1,1,0]
	;; [unrolled: 1-line block ×8, first 2 shown]
	v_mul_lo_u32 v4, v3, s34
	v_add_nc_u32_e32 v2, s31, v2
	v_dot4_i32_iu8 v64, v5, v16, v64 neg_lo:[1,1,0]
	v_dot4_i32_iu8 v65, v5, v17, v65 neg_lo:[1,1,0]
	;; [unrolled: 1-line block ×16, first 2 shown]
	v_mad_co_u64_u32 v[5:6], null, v2, s35, v[4:5]
	v_dot4_i32_iu8 v68, v7, v16, v68 neg_lo:[1,1,0]
	v_dot4_i32_iu8 v69, v7, v17, v69 neg_lo:[1,1,0]
	;; [unrolled: 1-line block ×3, first 2 shown]
	ds_load_b128 v[12:15], v1 offset:22016
	v_dot4_i32_iu8 v71, v7, v19, v71 neg_lo:[1,1,0]
	v_dot4_i32_iu8 v72, v7, v20, v72 neg_lo:[1,1,0]
	buffer_load_b32 v4, v5, s[12:15], null offen
	v_dot4_i32_iu8 v73, v7, v21, v73 neg_lo:[1,1,0]
	ds_load_b128 v[16:19], v1 offset:22272
	v_dot4_i32_iu8 v74, v7, v22, v74 neg_lo:[1,1,0]
	v_dot4_i32_iu8 v75, v7, v23, v75 neg_lo:[1,1,0]
	ds_load_b128 v[20:23], v0 offset:5888
	s_lshl_b32 s0, s35, 6
	v_cmp_gt_i32_e32 vcc_lo, s29, v2
	v_add_nc_u32_e32 v6, s0, v5
	s_add_co_i32 s1, s0, s34
	s_wait_alu 0xfffe
	s_sub_co_i32 s1, s1, s2
	s_mul_i32 s2, s34, 60
	buffer_load_b32 v5, v6, s[12:15], null offen
	s_wait_dscnt 0x2
	v_dot4_i32_iu8 v83, v8, v12, v83 neg_lo:[1,1,0]
	v_dot4_i32_iu8 v24, v8, v13, v24 neg_lo:[1,1,0]
	;; [unrolled: 1-line block ×16, first 2 shown]
	s_wait_dscnt 0x1
	v_dot4_i32_iu8 v52, v8, v16, v52 neg_lo:[1,1,0]
	v_dot4_i32_iu8 v53, v8, v17, v53 neg_lo:[1,1,0]
	;; [unrolled: 1-line block ×16, first 2 shown]
	ds_load_b128 v[7:10], v0 offset:6144
	s_wait_dscnt 0x1
	v_dot4_i32_iu8 v31, v20, v12, v31 neg_lo:[1,1,0]
	v_dot4_i32_iu8 v47, v20, v13, v47 neg_lo:[1,1,0]
	;; [unrolled: 1-line block ×12, first 2 shown]
	ds_load_b128 v[11:14], v1 offset:22528
	v_dot4_i32_iu8 v63, v20, v15, v63 neg_lo:[1,1,0]
	v_dot4_i32_iu8 v67, v21, v15, v67 neg_lo:[1,1,0]
	;; [unrolled: 1-line block ×20, first 2 shown]
	ds_load_b128 v[15:18], v1 offset:22784
	ds_load_b128 v[19:22], v0 offset:6400
	v_add_nc_u32_e32 v23, s1, v6
	s_wait_dscnt 0x2
	v_dot4_i32_iu8 v27, v8, v11, v27 neg_lo:[1,1,0]
	v_dot4_i32_iu8 v34, v8, v12, v34 neg_lo:[1,1,0]
	;; [unrolled: 1-line block ×4, first 2 shown]
	buffer_load_b32 v6, v23, s[12:15], null offen
	v_dot4_i32_iu8 v83, v7, v11, v83 neg_lo:[1,1,0]
	v_dot4_i32_iu8 v88, v7, v12, v24 neg_lo:[1,1,0]
	v_dot4_i32_iu8 v89, v7, v13, v25 neg_lo:[1,1,0]
	v_dot4_i32_iu8 v90, v7, v14, v26 neg_lo:[1,1,0]
	v_dot4_i32_iu8 v40, v9, v11, v40 neg_lo:[1,1,0]
	v_dot4_i32_iu8 v41, v9, v12, v41 neg_lo:[1,1,0]
	v_dot4_i32_iu8 v42, v9, v13, v42 neg_lo:[1,1,0]
	v_dot4_i32_iu8 v43, v9, v14, v43 neg_lo:[1,1,0]
	v_dot4_i32_iu8 v48, v10, v11, v48 neg_lo:[1,1,0]
	v_dot4_i32_iu8 v49, v10, v12, v49 neg_lo:[1,1,0]
	v_dot4_i32_iu8 v50, v10, v13, v50 neg_lo:[1,1,0]
	v_dot4_i32_iu8 v51, v10, v14, v51 neg_lo:[1,1,0]
	s_wait_dscnt 0x1
	v_dot4_i32_iu8 v28, v8, v15, v28 neg_lo:[1,1,0]
	v_dot4_i32_iu8 v44, v8, v16, v44 neg_lo:[1,1,0]
	;; [unrolled: 1-line block ×4, first 2 shown]
	v_add_nc_u32_e32 v8, s0, v23
	v_dot4_i32_iu8 v52, v7, v15, v52 neg_lo:[1,1,0]
	v_dot4_i32_iu8 v53, v7, v16, v53 neg_lo:[1,1,0]
	v_dot4_i32_iu8 v54, v7, v17, v54 neg_lo:[1,1,0]
	v_dot4_i32_iu8 v55, v7, v18, v55 neg_lo:[1,1,0]
	buffer_load_b32 v7, v8, s[12:15], null offen
	v_dot4_i32_iu8 v29, v9, v15, v29 neg_lo:[1,1,0]
	v_dot4_i32_iu8 v45, v9, v16, v45 neg_lo:[1,1,0]
	;; [unrolled: 1-line block ×4, first 2 shown]
	v_add_nc_u32_e32 v9, s1, v8
	v_dot4_i32_iu8 v30, v10, v15, v30 neg_lo:[1,1,0]
	v_dot4_i32_iu8 v46, v10, v16, v46 neg_lo:[1,1,0]
	;; [unrolled: 1-line block ×4, first 2 shown]
	ds_load_b128 v[23:26], v0 offset:6656
	s_wait_dscnt 0x1
	v_dot4_i32_iu8 v31, v19, v11, v31 neg_lo:[1,1,0]
	v_dot4_i32_iu8 v47, v19, v12, v47 neg_lo:[1,1,0]
	;; [unrolled: 1-line block ×13, first 2 shown]
	buffer_load_b32 v8, v9, s[12:15], null offen
	v_dot4_i32_iu8 v69, v22, v12, v69 neg_lo:[1,1,0]
	v_dot4_i32_iu8 v70, v22, v13, v70 neg_lo:[1,1,0]
	;; [unrolled: 1-line block ×3, first 2 shown]
	ds_load_b128 v[10:13], v1 offset:23040
	v_dot4_i32_iu8 v84, v19, v15, v84 neg_lo:[1,1,0]
	v_dot4_i32_iu8 v85, v19, v16, v85 neg_lo:[1,1,0]
	v_dot4_i32_iu8 v86, v19, v17, v86 neg_lo:[1,1,0]
	v_dot4_i32_iu8 v87, v20, v15, v87 neg_lo:[1,1,0]
	v_dot4_i32_iu8 v32, v20, v16, v32 neg_lo:[1,1,0]
	v_dot4_i32_iu8 v36, v20, v17, v36 neg_lo:[1,1,0]
	v_dot4_i32_iu8 v33, v21, v15, v33 neg_lo:[1,1,0]
	v_dot4_i32_iu8 v37, v21, v16, v37 neg_lo:[1,1,0]
	v_dot4_i32_iu8 v38, v21, v17, v38 neg_lo:[1,1,0]
	v_dot4_i32_iu8 v72, v22, v15, v72 neg_lo:[1,1,0]
	v_dot4_i32_iu8 v73, v22, v16, v73 neg_lo:[1,1,0]
	v_dot4_i32_iu8 v74, v22, v17, v74 neg_lo:[1,1,0]
	ds_load_b128 v[14:17], v1 offset:23296
	v_add_nc_u32_e32 v91, s0, v9
	v_dot4_i32_iu8 v75, v22, v18, v75 neg_lo:[1,1,0]
	v_dot4_i32_iu8 v80, v19, v18, v80 neg_lo:[1,1,0]
	;; [unrolled: 1-line block ×4, first 2 shown]
	v_add_nc_u32_e32 v22, s1, v91
	ds_load_b128 v[18:21], v0 offset:6912
	s_wait_dscnt 0x2
	v_dot4_i32_iu8 v48, v26, v10, v48 neg_lo:[1,1,0]
	v_dot4_i32_iu8 v49, v26, v11, v49 neg_lo:[1,1,0]
	;; [unrolled: 1-line block ×3, first 2 shown]
	v_add_nc_u32_e32 v92, s0, v22
	v_dot4_i32_iu8 v51, v26, v13, v51 neg_lo:[1,1,0]
	v_dot4_i32_iu8 v83, v23, v10, v83 neg_lo:[1,1,0]
	;; [unrolled: 1-line block ×8, first 2 shown]
	s_wait_dscnt 0x1
	v_dot4_i32_iu8 v30, v26, v14, v30 neg_lo:[1,1,0]
	v_dot4_i32_iu8 v46, v26, v15, v46 neg_lo:[1,1,0]
	;; [unrolled: 1-line block ×4, first 2 shown]
	s_clause 0x2
	buffer_load_b32 v61, v92, s[12:15], null offen
	buffer_load_b32 v9, v91, s[12:15], null offen
	;; [unrolled: 1-line block ×3, first 2 shown]
	v_add3_u32 v92, s1, s2, v92
	v_dot4_i32_iu8 v39, v24, v13, v39 neg_lo:[1,1,0]
	v_dot4_i32_iu8 v40, v25, v10, v40 neg_lo:[1,1,0]
	;; [unrolled: 1-line block ×4, first 2 shown]
	buffer_load_b32 v93, v92, s[12:15], null offen
	v_add_nc_u32_e32 v92, s0, v92
	v_dot4_i32_iu8 v43, v25, v13, v43 neg_lo:[1,1,0]
	v_dot4_i32_iu8 v52, v23, v14, v52 neg_lo:[1,1,0]
	;; [unrolled: 1-line block ×13, first 2 shown]
	ds_load_b128 v[22:25], v0 offset:7168
	s_wait_dscnt 0x1
	v_dot4_i32_iu8 v31, v18, v10, v31 neg_lo:[1,1,0]
	v_dot4_i32_iu8 v47, v18, v11, v47 neg_lo:[1,1,0]
	;; [unrolled: 1-line block ×16, first 2 shown]
	ds_load_b128 v[10:13], v1 offset:23552
	v_dot4_i32_iu8 v84, v18, v14, v84 neg_lo:[1,1,0]
	v_dot4_i32_iu8 v85, v18, v15, v85 neg_lo:[1,1,0]
	;; [unrolled: 1-line block ×16, first 2 shown]
	ds_load_b128 v[14:17], v1 offset:23808
	ds_load_b128 v[18:21], v0 offset:7424
	buffer_load_b32 v94, v92, s[12:15], null offen
	v_add_nc_u32_e32 v92, s1, v92
	s_wait_dscnt 0x2
	v_dot4_i32_iu8 v83, v22, v10, v83 neg_lo:[1,1,0]
	v_dot4_i32_iu8 v88, v22, v11, v88 neg_lo:[1,1,0]
	;; [unrolled: 1-line block ×4, first 2 shown]
	buffer_load_b32 v95, v92, s[12:15], null offen
	v_add_nc_u32_e32 v92, s0, v92
	v_dot4_i32_iu8 v27, v23, v10, v27 neg_lo:[1,1,0]
	v_dot4_i32_iu8 v34, v23, v11, v34 neg_lo:[1,1,0]
	;; [unrolled: 1-line block ×4, first 2 shown]
	buffer_load_b32 v96, v92, s[12:15], null offen
	v_dot4_i32_iu8 v40, v24, v10, v40 neg_lo:[1,1,0]
	v_dot4_i32_iu8 v41, v24, v11, v41 neg_lo:[1,1,0]
	v_dot4_i32_iu8 v42, v24, v12, v42 neg_lo:[1,1,0]
	v_dot4_i32_iu8 v43, v24, v13, v43 neg_lo:[1,1,0]
	v_dot4_i32_iu8 v48, v25, v10, v48 neg_lo:[1,1,0]
	v_dot4_i32_iu8 v49, v25, v11, v49 neg_lo:[1,1,0]
	v_dot4_i32_iu8 v50, v25, v12, v50 neg_lo:[1,1,0]
	v_dot4_i32_iu8 v51, v25, v13, v51 neg_lo:[1,1,0]
	s_wait_dscnt 0x1
	v_dot4_i32_iu8 v52, v22, v14, v52 neg_lo:[1,1,0]
	v_dot4_i32_iu8 v53, v22, v15, v53 neg_lo:[1,1,0]
	;; [unrolled: 1-line block ×16, first 2 shown]
	ds_load_b128 v[22:25], v0 offset:7680
	s_wait_dscnt 0x1
	v_dot4_i32_iu8 v31, v18, v10, v31 neg_lo:[1,1,0]
	v_dot4_i32_iu8 v47, v18, v11, v47 neg_lo:[1,1,0]
	;; [unrolled: 1-line block ×16, first 2 shown]
	v_add_nc_u32_e32 v92, s1, v92
	ds_load_b128 v[10:13], v1 offset:24064
	v_dot4_i32_iu8 v84, v18, v14, v84 neg_lo:[1,1,0]
	v_dot4_i32_iu8 v85, v18, v15, v85 neg_lo:[1,1,0]
	;; [unrolled: 1-line block ×3, first 2 shown]
	buffer_load_b32 v97, v92, s[12:15], null offen
	v_dot4_i32_iu8 v80, v18, v17, v80 neg_lo:[1,1,0]
	v_dot4_i32_iu8 v87, v19, v14, v87 neg_lo:[1,1,0]
	;; [unrolled: 1-line block ×13, first 2 shown]
	ds_load_b128 v[14:17], v1 offset:24320
	ds_load_b128 v[18:21], v0 offset:7936
	s_wait_dscnt 0x2
	v_dot4_i32_iu8 v1, v22, v11, v88 neg_lo:[1,1,0]
	v_add_nc_u32_e32 v88, s0, v92
	v_dot4_i32_iu8 v0, v22, v10, v83 neg_lo:[1,1,0]
	v_dot4_i32_iu8 v83, v22, v12, v89 neg_lo:[1,1,0]
	;; [unrolled: 1-line block ×4, first 2 shown]
	buffer_load_b32 v90, v88, s[12:15], null offen
	v_dot4_i32_iu8 v34, v23, v11, v34 neg_lo:[1,1,0]
	v_dot4_i32_iu8 v35, v23, v12, v35 neg_lo:[1,1,0]
	;; [unrolled: 1-line block ×10, first 2 shown]
	s_wait_dscnt 0x1
	v_dot4_i32_iu8 v52, v22, v14, v52 neg_lo:[1,1,0]
	v_dot4_i32_iu8 v53, v22, v15, v53 neg_lo:[1,1,0]
	;; [unrolled: 1-line block ×4, first 2 shown]
	v_add_nc_u32_e32 v55, s1, v88
	v_dot4_i32_iu8 v28, v23, v14, v28 neg_lo:[1,1,0]
	v_dot4_i32_iu8 v44, v23, v15, v44 neg_lo:[1,1,0]
	;; [unrolled: 1-line block ×4, first 2 shown]
	buffer_load_b32 v57, v55, s[12:15], null offen
	v_dot4_i32_iu8 v51, v25, v13, v51 neg_lo:[1,1,0]
	v_dot4_i32_iu8 v29, v24, v14, v29 neg_lo:[1,1,0]
	;; [unrolled: 1-line block ×9, first 2 shown]
	s_wait_dscnt 0x0
	v_dot4_i32_iu8 v26, v18, v10, v31 neg_lo:[1,1,0]
	v_add_nc_u32_e32 v31, s0, v55
	v_cmp_gt_i32_e64 s1, s28, v3
	v_dot4_i32_iu8 v60, v18, v13, v63 neg_lo:[1,1,0]
	v_dot4_i32_iu8 v63, v19, v11, v65 neg_lo:[1,1,0]
	;; [unrolled: 1-line block ×3, first 2 shown]
	buffer_load_b32 v31, v31, s[12:15], null offen
	s_and_b32 s0, s1, vcc_lo
	v_dot4_i32_iu8 v55, v18, v12, v62 neg_lo:[1,1,0]
	s_wait_loadcnt 0xf
	s_wait_alu 0xfffe
	v_cndmask_b32_e64 v4, 0, v4, s0
	v_dot4_i32_iu8 v62, v19, v10, v64 neg_lo:[1,1,0]
	v_dot4_i32_iu8 v64, v19, v12, v66 neg_lo:[1,1,0]
	;; [unrolled: 1-line block ×4, first 2 shown]
	v_add_nc_u16 v0, v4, v0
	v_dot4_i32_iu8 v77, v20, v13, v79 neg_lo:[1,1,0]
	v_dot4_i32_iu8 v10, v21, v10, v68 neg_lo:[1,1,0]
	;; [unrolled: 1-line block ×7, first 2 shown]
	v_add_nc_u32_e32 v72, 64, v2
	v_bfe_i32 v0, v0, 0, 8
	v_dot4_i32_iu8 v47, v18, v11, v47 neg_lo:[1,1,0]
	v_dot4_i32_iu8 v76, v20, v12, v78 neg_lo:[1,1,0]
	;; [unrolled: 1-line block ×3, first 2 shown]
	v_cmp_gt_i32_e64 s0, s29, v72
	v_dot4_i32_iu8 v12, v21, v12, v70 neg_lo:[1,1,0]
	v_dot4_i32_iu8 v69, v18, v15, v85 neg_lo:[1,1,0]
	;; [unrolled: 1-line block ×9, first 2 shown]
	v_lshrrev_b32_e32 v78, 8, v4
	v_dot4_i32_iu8 v20, v20, v17, v82 neg_lo:[1,1,0]
	v_dot4_i32_iu8 v15, v21, v15, v73 neg_lo:[1,1,0]
	;; [unrolled: 1-line block ×4, first 2 shown]
	v_lshrrev_b32_e32 v21, 16, v4
	v_lshrrev_b32_e32 v4, 24, v4
	v_max_i16 v0, v0, 0
	s_and_b32 s1, s1, s0
	v_add_nc_u16 v1, v78, v1
	s_wait_loadcnt 0xe
	s_wait_alu 0xfffe
	v_cndmask_b32_e64 v5, 0, v5, s1
	v_add_nc_u16 v21, v21, v83
	v_and_b32_e32 v73, 0xffff, v0
	v_add_nc_u16 v0, v4, v89
	v_or_b32_e32 v78, 0x43, v3
	v_lshrrev_b32_e32 v74, 8, v5
	v_bfe_i32 v4, v21, 0, 8
	v_add_nc_u16 v21, v5, v52
	v_bfe_i32 v0, v0, 0, 8
	v_or_b32_e32 v52, 1, v3
	v_bfe_i32 v1, v1, 0, 8
	v_max_i16 v4, v4, 0
	v_bfe_i32 v21, v21, 0, 8
	v_max_i16 v75, v0, 0
	v_add_nc_u16 v0, v74, v53
	v_cmp_gt_i32_e64 s1, s28, v52
	v_lshrrev_b32_e32 v53, 16, v5
	v_lshrrev_b32_e32 v5, 24, v5
	v_max_i16 v1, v1, 0
	v_bfe_i32 v0, v0, 0, 8
	s_and_b32 s2, s1, vcc_lo
	v_add_nc_u16 v53, v53, v54
	s_wait_loadcnt 0xd
	s_wait_alu 0xfffe
	v_cndmask_b32_e64 v6, 0, v6, s2
	v_add_nc_u16 v5, v5, v22
	v_max_i16 v0, v0, 0
	s_and_b32 s1, s1, s0
	v_bfe_i32 v22, v53, 0, 8
	v_lshrrev_b32_e32 v54, 8, v6
	v_add_nc_u16 v27, v6, v27
	v_and_b32_e32 v53, 0xffff, v0
	v_bfe_i32 v0, v5, 0, 8
	v_max_i16 v5, v22, 0
	v_add_nc_u16 v34, v54, v34
	v_bfe_i32 v22, v27, 0, 8
	v_and_b32_e32 v1, 0xffff, v1
	v_max_i16 v54, v0, 0
	v_lshrrev_b32_e32 v0, 24, v6
	v_bfe_i32 v27, v34, 0, 8
	v_lshrrev_b32_e32 v34, 16, v6
	s_wait_loadcnt 0xc
	s_wait_alu 0xfffe
	v_cndmask_b32_e64 v7, 0, v7, s1
	v_max_i16 v6, v22, 0
	v_add_nc_u16 v0, v0, v39
	v_max_i16 v22, v27, 0
	v_add_nc_u16 v27, v34, v35
	v_or_b32_e32 v34, 2, v3
	v_lshrrev_b32_e32 v35, 8, v7
	v_bfe_i32 v0, v0, 0, 8
	v_add_nc_u16 v28, v7, v28
	v_lshlrev_b32_e32 v4, 16, v4
	v_cmp_gt_i32_e64 s1, s28, v34
	v_max_i16 v21, v21, 0
	v_max_i16 v39, v0, 0
	v_add_nc_u16 v0, v35, v44
	v_lshrrev_b32_e32 v35, 16, v7
	s_and_b32 s2, s1, vcc_lo
	v_lshrrev_b32_e32 v7, 24, v7
	s_and_b32 s1, s1, s0
	v_bfe_i32 v0, v0, 0, 8
	v_add_nc_u16 v35, v35, v56
	v_and_b32_e32 v21, 0xffff, v21
	v_add_nc_u16 v7, v7, v23
	v_bfe_i32 v28, v28, 0, 8
	v_max_i16 v0, v0, 0
	s_wait_loadcnt 0xb
	s_wait_alu 0xfffe
	v_cndmask_b32_e64 v8, 0, v8, s2
	v_bfe_i32 v23, v35, 0, 8
	v_lshlrev_b32_e32 v5, 16, v5
	v_max_i16 v28, v28, 0
	v_bfe_i32 v27, v27, 0, 8
	v_lshrrev_b32_e32 v44, 8, v8
	v_add_nc_u16 v35, v8, v40
	v_and_b32_e32 v6, 0xffff, v6
	v_and_b32_e32 v28, 0xffff, v28
	;; [unrolled: 1-line block ×3, first 2 shown]
	v_add_nc_u16 v40, v44, v41
	v_and_b32_e32 v41, 0xffff, v0
	v_bfe_i32 v0, v7, 0, 8
	v_max_i16 v7, v23, 0
	v_bfe_i32 v23, v35, 0, 8
	v_bfe_i32 v35, v40, 0, 8
	v_lshrrev_b32_e32 v40, 16, v8
	v_max_i16 v44, v0, 0
	v_lshrrev_b32_e32 v0, 24, v8
	v_max_i16 v8, v23, 0
	v_max_i16 v23, v35, 0
	v_add_nc_u16 v35, v40, v42
	v_or_b32_e32 v40, 3, v3
	v_add_nc_u16 v0, v0, v43
	v_max_i16 v27, v27, 0
	v_lshlrev_b32_e32 v7, 16, v7
	v_bfe_i32 v35, v35, 0, 8
	v_and_b32_e32 v8, 0xffff, v8
	v_bfe_i32 v0, v0, 0, 8
	v_and_b32_e32 v23, 0xffff, v23
	v_lshl_or_b32 v6, v22, 8, v6
	v_max_i16 v35, v35, 0
	s_delay_alu instid0(VALU_DEP_4) | instskip(NEXT) | instid1(VALU_DEP_4)
	v_max_i16 v43, v0, 0
	v_lshl_or_b32 v8, v23, 8, v8
	s_wait_loadcnt 0x9
	v_cndmask_b32_e64 v9, 0, v9, s1
	v_cmp_gt_i32_e64 s1, s28, v40
	s_delay_alu instid0(VALU_DEP_2) | instskip(SKIP_3) | instid1(VALU_DEP_2)
	v_lshrrev_b32_e32 v42, 8, v9
	s_and_b32 s2, s1, vcc_lo
	v_add_nc_u16 v29, v9, v29
	s_and_b32 s1, s1, s0
	v_add_nc_u16 v0, v42, v45
	v_lshrrev_b32_e32 v42, 16, v9
	s_wait_loadcnt 0x8
	s_wait_alu 0xfffe
	v_cndmask_b32_e64 v45, 0, v91, s2
	v_lshrrev_b32_e32 v9, 24, v9
	v_bfe_i32 v29, v29, 0, 8
	v_bfe_i32 v0, v0, 0, 8
	v_add_nc_u16 v42, v42, v58
	v_lshrrev_b32_e32 v56, 8, v45
	v_add_nc_u16 v9, v9, v24
	v_max_i16 v29, v29, 0
	v_max_i16 v0, v0, 0
	v_bfe_i32 v24, v42, 0, 8
	v_add_nc_u16 v42, v45, v48
	v_add_nc_u16 v48, v56, v49
	v_and_b32_e32 v29, 0xffff, v29
	v_and_b32_e32 v49, 0xffff, v0
	v_bfe_i32 v0, v9, 0, 8
	v_max_i16 v9, v24, 0
	v_bfe_i32 v24, v42, 0, 8
	v_bfe_i32 v42, v48, 0, 8
	v_lshrrev_b32_e32 v48, 16, v45
	v_max_i16 v56, v0, 0
	v_lshrrev_b32_e32 v0, 24, v45
	v_max_i16 v24, v24, 0
	v_max_i16 v42, v42, 0
	v_add_nc_u16 v45, v48, v50
	v_cndmask_b32_e64 v48, 0, v61, s1
	v_add_nc_u16 v0, v0, v51
	v_or_b32_e32 v50, 64, v3
	v_lshlrev_b32_e32 v9, 16, v9
	v_bfe_i32 v45, v45, 0, 8
	v_lshrrev_b32_e32 v51, 8, v48
	v_bfe_i32 v0, v0, 0, 8
	v_cmp_gt_i32_e64 s1, s28, v50
	v_add_nc_u16 v30, v48, v30
	v_and_b32_e32 v24, 0xffff, v24
	v_and_b32_e32 v42, 0xffff, v42
	v_max_i16 v58, v0, 0
	v_add_nc_u16 v0, v51, v46
	v_lshrrev_b32_e32 v46, 16, v48
	v_lshrrev_b32_e32 v48, 24, v48
	s_and_b32 s2, s1, vcc_lo
	s_and_b32 s1, s1, s0
	v_bfe_i32 v0, v0, 0, 8
	s_wait_loadcnt 0x7
	s_wait_alu 0xfffe
	v_cndmask_b32_e64 v51, 0, v93, s2
	v_add_nc_u16 v25, v48, v25
	v_add_nc_u16 v46, v46, v59
	v_bfe_i32 v30, v30, 0, 8
	v_max_i16 v0, v0, 0
	v_lshrrev_b32_e32 v59, 8, v51
	v_add_nc_u16 v26, v51, v26
	v_bfe_i32 v46, v46, 0, 8
	v_max_i16 v30, v30, 0
	v_and_b32_e32 v48, 0xffff, v0
	v_bfe_i32 v0, v25, 0, 8
	v_add_nc_u16 v47, v59, v47
	v_max_i16 v25, v46, 0
	v_and_b32_e32 v30, 0xffff, v30
	v_max_i16 v45, v45, 0
	v_max_i16 v59, v0, 0
	v_lshrrev_b32_e32 v0, 24, v51
	v_bfe_i32 v46, v47, 0, 8
	v_lshrrev_b32_e32 v47, 16, v51
	s_wait_loadcnt 0x6
	v_cndmask_b32_e64 v51, 0, v94, s1
	v_bfe_i32 v26, v26, 0, 8
	v_add_nc_u16 v0, v0, v60
	v_or_b32_e32 v60, 0x41, v3
	v_add_nc_u16 v47, v47, v55
	v_lshrrev_b32_e32 v61, 8, v51
	v_add_nc_u16 v55, v51, v68
	v_bfe_i32 v0, v0, 0, 8
	v_cmp_gt_i32_e64 s1, s28, v60
	v_max_i16 v26, v26, 0
	v_max_i16 v46, v46, 0
	v_bfe_i32 v55, v55, 0, 8
	v_max_i16 v68, v0, 0
	s_and_b32 s2, s1, vcc_lo
	v_add_nc_u16 v0, v61, v69
	v_lshrrev_b32_e32 v61, 16, v51
	s_wait_loadcnt 0x5
	s_wait_alu 0xfffe
	v_cndmask_b32_e64 v69, 0, v95, s2
	v_lshrrev_b32_e32 v51, 24, v51
	s_and_b32 s1, s1, s0
	v_bfe_i32 v0, v0, 0, 8
	v_add_nc_u16 v61, v61, v70
	v_lshrrev_b32_e32 v70, 8, v69
	v_add_nc_u16 v18, v51, v18
	v_max_i16 v55, v55, 0
	v_max_i16 v0, v0, 0
	v_bfe_i32 v51, v61, 0, 8
	v_add_nc_u16 v61, v69, v62
	v_add_nc_u16 v62, v70, v63
	v_bfe_i32 v47, v47, 0, 8
	v_and_b32_e32 v63, 0xffff, v0
	v_bfe_i32 v0, v18, 0, 8
	v_max_i16 v18, v51, 0
	v_bfe_i32 v51, v61, 0, 8
	v_bfe_i32 v61, v62, 0, 8
	v_lshrrev_b32_e32 v62, 16, v69
	v_max_i16 v70, v0, 0
	v_lshrrev_b32_e32 v0, 24, v69
	v_or_b32_e32 v69, 0x42, v3
	v_max_i16 v51, v51, 0
	v_add_nc_u16 v62, v62, v64
	s_wait_loadcnt 0x4
	s_wait_alu 0xfffe
	v_cndmask_b32_e64 v64, 0, v96, s1
	v_add_nc_u16 v0, v0, v65
	v_cmp_gt_i32_e64 s1, s28, v69
	v_max_i16 v61, v61, 0
	v_bfe_i32 v62, v62, 0, 8
	v_add_nc_u16 v65, v64, v71
	v_bfe_i32 v0, v0, 0, 8
	v_lshrrev_b32_e32 v71, 8, v64
	s_and_b32 s2, s1, vcc_lo
	s_and_b32 s1, s1, s0
	v_bfe_i32 v65, v65, 0, 8
	v_max_i16 v74, v0, 0
	v_add_nc_u16 v0, v71, v32
	v_lshrrev_b32_e32 v32, 16, v64
	s_wait_loadcnt 0x3
	s_wait_alu 0xfffe
	v_cndmask_b32_e64 v71, 0, v97, s2
	v_max_i16 v65, v65, 0
	v_and_b32_e32 v51, 0xffff, v51
	v_bfe_i32 v0, v0, 0, 8
	v_add_nc_u16 v32, v32, v36
	v_lshrrev_b32_e32 v36, 24, v64
	v_and_b32_e32 v64, 0xffff, v65
	v_lshrrev_b32_e32 v65, 8, v71
	v_max_i16 v0, v0, 0
	v_and_b32_e32 v61, 0xffff, v61
	v_add_nc_u16 v19, v36, v19
	v_add_nc_u16 v36, v71, v66
	;; [unrolled: 1-line block ×3, first 2 shown]
	v_and_b32_e32 v66, 0xffff, v0
	v_lshrrev_b32_e32 v67, 24, v71
	v_bfe_i32 v0, v19, 0, 8
	v_bfe_i32 v19, v36, 0, 8
	;; [unrolled: 1-line block ×3, first 2 shown]
	v_lshrrev_b32_e32 v65, 16, v71
	v_max_i16 v62, v62, 0
	v_max_i16 v71, v0, 0
	v_max_i16 v0, v19, 0
	v_max_i16 v19, v36, 0
	v_add_nc_u16 v36, v65, v76
	v_add_nc_u16 v65, v67, v77
	s_wait_loadcnt 0x2
	v_cndmask_b32_e64 v67, 0, v90, s1
	v_and_b32_e32 v76, 0xffff, v0
	v_cmp_gt_i32_e64 s1, s28, v78
	v_bfe_i32 v0, v36, 0, 8
	v_bfe_i32 v36, v65, 0, 8
	v_add_nc_u16 v33, v67, v33
	v_lshrrev_b32_e32 v65, 8, v67
	s_and_b32 vcc_lo, s1, vcc_lo
	v_max_i16 v77, v0, 0
	v_bfe_i32 v32, v32, 0, 8
	v_bfe_i32 v0, v33, 0, 8
	v_add_nc_u16 v33, v65, v37
	v_lshrrev_b32_e32 v37, 16, v67
	v_lshrrev_b32_e32 v65, 24, v67
	v_and_b32_e32 v19, 0xffff, v19
	v_max_i16 v0, v0, 0
	v_bfe_i32 v33, v33, 0, 8
	v_add_nc_u16 v37, v37, v38
	s_wait_loadcnt 0x1
	s_wait_alu 0xfffe
	v_cndmask_b32_e32 v38, 0, v57, vcc_lo
	v_add_nc_u16 v20, v65, v20
	v_and_b32_e32 v57, 0xffff, v0
	v_max_i16 v0, v33, 0
	v_bfe_i32 v33, v37, 0, 8
	v_lshrrev_b32_e32 v37, 8, v38
	s_and_b32 vcc_lo, s1, s0
	v_cmp_gt_i32_e64 s0, s26, v3
	v_and_b32_e32 v65, 0xffff, v0
	s_wait_loadcnt 0x0
	s_wait_alu 0xfffe
	v_cndmask_b32_e32 v31, 0, v31, vcc_lo
	v_add_nc_u16 v0, v37, v11
	v_lshrrev_b32_e32 v11, 16, v38
	v_cmp_gt_i32_e32 vcc_lo, s27, v2
	v_add_nc_u16 v10, v38, v10
	v_lshrrev_b32_e32 v37, 8, v31
	v_bfe_i32 v0, v0, 0, 8
	v_add_nc_u16 v11, v11, v12
	v_lshrrev_b32_e32 v12, 24, v38
	v_add_nc_u16 v14, v31, v14
	v_add_nc_u16 v15, v37, v15
	v_max_i16 v0, v0, 0
	s_and_b32 s1, s0, vcc_lo
	v_bfe_i32 v10, v10, 0, 8
	v_bfe_i32 v11, v11, 0, 8
	;; [unrolled: 1-line block ×3, first 2 shown]
	v_and_b32_e32 v37, 0xffff, v0
	v_add_nc_u16 v0, v12, v13
	v_bfe_i32 v12, v14, 0, 8
	v_lshrrev_b32_e32 v14, 16, v31
	v_bfe_i32 v13, v15, 0, 8
	v_lshrrev_b32_e32 v15, 24, v31
	v_bfe_i32 v0, v0, 0, 8
	v_lshlrev_b32_e32 v31, 24, v75
	v_add_nc_u16 v14, v14, v16
	v_max_i16 v10, v10, 0
	v_add_nc_u16 v15, v15, v17
	v_max_i16 v16, v0, 0
	v_mul_lo_u32 v0, v3, s24
	v_lshl_or_b32 v17, v1, 8, v73
	v_bfe_i32 v14, v14, 0, 8
	v_bfe_i32 v15, v15, 0, 8
	v_and_b32_e32 v10, 0xffff, v10
	v_max_i16 v11, v11, 0
	v_or3_b32 v3, v17, v4, v31
	s_wait_alu 0xfffe
	v_cndmask_b32_e64 v4, 0x80000000, 0, s1
	v_mad_co_u64_u32 v[0:1], null, v2, s25, v[0:1]
	v_cmp_gt_i32_e64 s1, s27, v72
	v_max_i16 v1, v14, 0
	v_max_i16 v2, v15, 0
	v_lshl_or_b32 v15, v53, 8, v21
	v_lshlrev_b32_e32 v17, 24, v54
	s_and_b32 s0, s0, s1
	v_add_nc_u32_e32 v14, s3, v0
	s_wait_alu 0xfffe
	v_cndmask_b32_e64 v21, 0x80000000, 0, s0
	v_cmp_gt_i32_e64 s0, s26, v52
	v_add_nc_u32_e32 v4, v4, v0
	v_or3_b32 v5, v15, v5, v17
	v_lshl_or_b32 v17, v41, 8, v28
	v_add_nc_u32_e32 v15, v21, v14
	s_and_b32 s2, s0, s1
	s_clause 0x1
	buffer_store_b32 v3, v4, s[20:23], null offen
	buffer_store_b32 v5, v15, s[20:23], null offen
	v_cndmask_b32_e64 v5, 0x80000000, 0, s2
	v_cmp_gt_i32_e64 s2, s26, v34
	v_lshlrev_b32_e32 v21, 24, v44
	s_and_b32 s0, s0, vcc_lo
	v_add_nc_u32_e32 v3, s24, v14
	s_wait_alu 0xfffe
	v_cndmask_b32_e64 v15, 0x80000000, 0, s0
	s_and_b32 s0, s2, vcc_lo
	v_or3_b32 v4, v17, v7, v21
	v_add_nc_u32_e32 v0, s24, v0
	v_lshlrev_b32_e32 v7, 16, v27
	v_lshlrev_b32_e32 v14, 24, v39
	;; [unrolled: 1-line block ×4, first 2 shown]
	s_wait_alu 0xfffe
	v_cndmask_b32_e64 v22, 0x80000000, 0, s0
	v_add_nc_u32_e32 v5, v5, v3
	v_add_nc_u32_e32 v3, s24, v3
	s_and_b32 s0, s2, s1
	v_or3_b32 v6, v6, v7, v14
	v_add_nc_u32_e32 v7, v0, v15
	v_or3_b32 v8, v8, v17, v21
	v_add3_u32 v0, v22, s24, v0
	s_wait_alu 0xfffe
	v_cndmask_b32_e64 v17, 0x80000000, 0, s0
	v_cmp_gt_i32_e64 s0, s26, v40
	v_lshl_or_b32 v14, v49, 8, v29
	v_lshlrev_b32_e32 v15, 24, v56
	s_clause 0x2
	buffer_store_b32 v4, v5, s[20:23], null offen
	buffer_store_b32 v6, v7, s[20:23], null offen
	;; [unrolled: 1-line block ×3, first 2 shown]
	v_add_nc_u32_e32 v5, s24, v3
	s_and_b32 s2, s0, s1
	s_and_b32 s0, s0, vcc_lo
	v_or3_b32 v0, v14, v9, v15
	v_add_nc_u32_e32 v4, v3, v17
	v_lshl_or_b32 v6, v48, 8, v30
	v_lshlrev_b32_e32 v7, 16, v25
	v_lshlrev_b32_e32 v8, 24, v59
	s_wait_alu 0xfffe
	v_cndmask_b32_e64 v9, 0x80000000, 0, s2
	v_subrev_nc_u32_e32 v14, s3, v5
	v_lshl_or_b32 v15, v42, 8, v24
	v_lshlrev_b32_e32 v17, 16, v45
	v_lshlrev_b32_e32 v21, 24, v58
	v_cndmask_b32_e64 v22, 0x80000000, 0, s0
	v_cmp_gt_i32_e64 s0, s26, v78
	buffer_store_b32 v0, v4, s[20:23], null offen
	v_or3_b32 v0, v6, v7, v8
	v_add_nc_u32_e32 v4, v5, v9
	v_or3_b32 v6, v15, v17, v21
	v_add_nc_u32_e32 v7, v14, v22
	s_and_b32 s4, s0, vcc_lo
	s_and_b32 s0, s0, s1
	v_max_i16 v12, v12, 0
	v_max_i16 v13, v13, 0
	s_clause 0x1
	buffer_store_b32 v0, v4, s[20:23], null offen
	buffer_store_b32 v6, v7, s[20:23], null offen
	v_cndmask_b32_e64 v7, 0x80000000, 0, s0
	v_cmp_ge_i32_e64 s0, s26, v78
	v_max_i16 v33, v33, 0
	v_max_i16 v20, v20, 0
	v_and_b32_e32 v12, 0xffff, v12
	v_and_b32_e32 v13, 0xffff, v13
	v_lshl_or_b32 v8, v37, 8, v10
	v_lshlrev_b32_e32 v9, 16, v11
	v_lshlrev_b32_e32 v10, 24, v16
	s_and_b32 s0, s0, s1
	v_lshl_or_b32 v6, v13, 8, v12
	s_wait_alu 0xfffe
	v_cndmask_b32_e64 v11, 0x80000000, 0, s0
	v_cmp_gt_i32_e64 s0, s26, v69
	v_or3_b32 v0, v8, v9, v10
	v_lshlrev_b32_e32 v1, 16, v1
	v_lshlrev_b32_e32 v2, 24, v2
	v_lshl_or_b32 v8, v65, 8, v57
	v_lshlrev_b32_e32 v9, 16, v33
	v_lshlrev_b32_e32 v10, 24, v20
	s_lshl_b32 s2, s24, 6
	v_cndmask_b32_e64 v4, 0x80000000, 0, s4
	s_and_b32 s0, s0, vcc_lo
	s_wait_alu 0xfffe
	v_add_nc_u32_e32 v3, s2, v3
	v_or3_b32 v1, v6, v1, v2
	v_add3_u32 v2, v5, s2, v7
	v_or3_b32 v5, v8, v9, v10
	v_cndmask_b32_e64 v10, 0x80000000, 0, s0
	v_cmp_ge_i32_e64 s0, s26, v69
	v_add3_u32 v4, v4, s2, v14
	v_add_nc_u32_e32 v6, v3, v11
	v_subrev_nc_u32_e32 v3, s3, v3
	s_clause 0x2
	buffer_store_b32 v0, v4, s[20:23], null offen
	buffer_store_b32 v1, v2, s[20:23], null offen
	;; [unrolled: 1-line block ×3, first 2 shown]
	s_and_b32 s0, s0, vcc_lo
	v_add_nc_u32_e32 v1, v3, v10
	s_wait_alu 0xfffe
	v_cndmask_b32_e64 v6, 0x80000000, 0, s0
	v_cmp_gt_i32_e64 s0, s26, v60
	v_subrev_nc_u32_e32 v2, s24, v3
	v_lshl_or_b32 v3, v61, 8, v51
	v_lshlrev_b32_e32 v4, 16, v62
	v_lshlrev_b32_e32 v5, 24, v74
	v_max_i16 v36, v36, 0
	s_and_b32 s0, s0, s1
	v_max_i16 v32, v32, 0
	v_lshl_or_b32 v7, v19, 8, v76
	v_or3_b32 v3, v3, v4, v5
	v_add_nc_u32_e32 v4, s3, v2
	v_add_nc_u32_e32 v2, v2, v6
	s_wait_alu 0xfffe
	v_cndmask_b32_e64 v6, 0x80000000, 0, s0
	v_cmp_gt_i32_e64 s0, s26, v50
	v_lshlrev_b32_e32 v8, 16, v77
	v_lshlrev_b32_e32 v9, 24, v36
	v_cmp_ge_i32_e64 s2, s26, v60
	v_and_b32_e32 v55, 0xffff, v55
	s_and_b32 s0, s0, vcc_lo
	v_and_b32_e32 v26, 0xffff, v26
	v_or3_b32 v0, v7, v8, v9
	v_lshl_or_b32 v7, v66, 8, v64
	v_lshlrev_b32_e32 v8, 16, v32
	v_lshlrev_b32_e32 v9, 24, v71
	v_and_b32_e32 v46, 0xffff, v46
	v_max_i16 v47, v47, 0
	s_wait_alu 0xfffe
	v_cndmask_b32_e64 v11, 0x80000000, 0, s0
	s_and_b32 s0, s2, s1
	v_or3_b32 v5, v7, v8, v9
	v_subrev_nc_u32_e32 v7, s24, v4
	v_lshl_or_b32 v8, v63, 8, v55
	v_lshlrev_b32_e32 v9, 16, v18
	v_lshlrev_b32_e32 v10, 24, v70
	s_wait_alu 0xfffe
	v_cndmask_b32_e64 v12, 0x80000000, 0, s0
	v_lshl_or_b32 v13, v46, 8, v26
	v_lshlrev_b32_e32 v14, 16, v47
	v_lshlrev_b32_e32 v15, 24, v68
	v_subrev_nc_u32_e32 v11, s3, v11
	v_add_nc_u32_e32 v4, v4, v6
	v_or3_b32 v6, v8, v9, v10
	v_add_nc_u32_e32 v8, v7, v12
	v_or3_b32 v9, v13, v14, v15
	v_add_nc_u32_e32 v7, v11, v7
	s_clause 0x4
	buffer_store_b32 v0, v1, s[20:23], null offen
	buffer_store_b32 v3, v2, s[20:23], null offen
	;; [unrolled: 1-line block ×5, first 2 shown]
	s_nop 0
	s_sendmsg sendmsg(MSG_DEALLOC_VGPRS)
	s_endpgm
	.section	.rodata,"a",@progbits
	.p2align	6, 0x0
	.amdhsa_kernel _ZN2ck16tensor_operation6device12_GLOBAL__N_137kernel_grouped_conv_fwd_dl_multiple_dINS_32GridwiseGemmDlMultipleD_km_kn_mnILi256EaiNS_5TupleIJaEEEaNS0_12element_wise11PassThroughES8_NS7_7AddReluELNS_25InMemoryDataOperationEnumE0ENS_16TensorDescriptorINS5_IJNS_5EmbedINS5_IJiiiiiEEESD_Lb0EEENS_11PassThroughIiEENS_3PadIiiiLb0EEESI_SI_SG_SG_NSC_INS5_IJiiEEESJ_Lb0EEESK_SK_SG_NS_23Merge_v2_magic_divisionINS5_IJiiiiEEEEESN_NS_8RightPadIiiLb0EEESP_NS_7UnMergeISJ_Lb0EEESG_EEENS5_IJNS_8SequenceIJLi0EEEENST_IJLi1EEEENST_IJLi2EEEENST_IJLi3EEEENST_IJLi4EEEENST_IJLi5EEEENST_IJLi6EEEENST_IJLi7EEEENST_IJLi8EEEENST_IJLi9EEEENST_IJLi10EEEENST_IJLi11ELi13ELi15ELi17EEEENST_IJLi12ELi14ELi16ELi18EEEENST_IJLi19EEEENST_IJLi20EEEENST_IJLi22EEEENST_IJLi21EEEEEEENS5_IJNST_IJLi1ELi2ELi3ELi4ELi5EEEES10_S11_S12_S13_S14_NST_IJLi11EEEENST_IJLi12ELi13EEEENST_IJLi14ELi15EEEENST_IJLi16ELi17EEEENST_IJLi18EEEES17_S18_S1A_S19_NST_IJLi23ELi24EEEENST_IJLi25EEEEEEENST_IJLi23ELi25ELi24EEEElEENSB_INS5_IJSR_SP_SP_SR_SG_EEENS5_IJSU_SV_SW_SY_SX_EEENS5_IJNST_IJLi1ELi2EEEESX_SY_NST_IJLi5ELi6EEEES11_EEENST_IJLi5ELi7ELi6EEEElEENSB_INS5_IJSK_SP_SP_EEENS5_IJSU_SV_SW_EEENS5_IJS1P_SX_SY_EEENST_IJLi3ELi4EEEElEELi128ELi128ELi16ELi4ELi4ELi4ELi1ENST_IJLi8ELi2EEEES1Z_NST_IJLi8ELi1ELi1ELi4EEEENST_IJLi2ELi1ELi128ELi1EEEENST_IJLi1ELi2ELi0ELi3EEEES22_NST_IJLi4ELi1ELi1ELi4EEEES22_NST_IJLi1ELi1ELi1ELi4EEEES20_S21_S22_S22_S23_S22_S24_NST_IJLi0ELi1ELi2ELi3ELi4ELi5EEEELi5ELi4EEEaNS5_IJPKaEEEaS8_S8_S9_NSB_INS5_IJSE_SG_SI_SI_SI_SG_SG_SK_SK_SK_SG_SN_SN_SP_SP_SR_SG_SG_NSQ_INS5_IJiNS_17integral_constantIiLi128EEEEEELb0EEENSF_INS2A_IiLi4EEEEEEEENS5_IJSU_SV_SW_SX_SY_SZ_S10_S11_S12_S13_S14_S15_S16_S17_S18_S19_S1A_NST_IJLi23EEEES1J_NST_IJLi24EEEEEEENS5_IJS1C_S10_S11_S12_S13_S14_S1D_S1E_S1F_S1G_S1H_S17_S18_S1A_S19_S1I_S1J_NST_IJLi26EEEENST_IJLi27ELi28EEEENST_IJLi29EEEEEEENST_IJLi26ELi27ELi28ELi29EEEElEENSB_INS5_IJSR_SP_SP_SR_SG_SG_S2D_S2F_EEENS5_IJSU_SV_SW_SY_SX_SZ_S11_S10_EEENS5_IJS1P_SX_SY_S1Q_S11_S12_NST_IJLi9ELi10EEEES1D_EEENST_IJLi8ELi9ELi10ELi11EEEElEENS5_IJNSB_INS5_IJSK_SP_SP_NSQ_INS5_IJiNS2A_IiLi2EEENS2A_IiLi64EEEEEELb0EEES2Z_EEENS5_IJSU_SV_SW_SX_SY_EEENS5_IJS1P_SX_SY_NST_IJLi5ELi6ELi7EEEENST_IJLi8ELi9ELi10EEEEEEENST_IJLi5ELi6ELi7ELi8ELi9ELi10EEEElEEEEES36_NS_31BlockToCTileMap_M00_N00_M01_N01ILi128ELi128ES1Y_Lb0EEENS1_30ComputePtrOffsetOfStridedBatchILi1ELi1ELi1EvEELb0ELb0EEEvPKT0_S3E_T1_PT2_T3_T4_T5_iT6_T7_T8_T9_T10_T11_
		.amdhsa_group_segment_fixed_size 32768
		.amdhsa_private_segment_fixed_size 0
		.amdhsa_kernarg_size 1024
		.amdhsa_user_sgpr_count 2
		.amdhsa_user_sgpr_dispatch_ptr 0
		.amdhsa_user_sgpr_queue_ptr 0
		.amdhsa_user_sgpr_kernarg_segment_ptr 1
		.amdhsa_user_sgpr_dispatch_id 0
		.amdhsa_user_sgpr_private_segment_size 0
		.amdhsa_wavefront_size32 1
		.amdhsa_uses_dynamic_stack 0
		.amdhsa_enable_private_segment 0
		.amdhsa_system_sgpr_workgroup_id_x 1
		.amdhsa_system_sgpr_workgroup_id_y 0
		.amdhsa_system_sgpr_workgroup_id_z 0
		.amdhsa_system_sgpr_workgroup_info 0
		.amdhsa_system_vgpr_workitem_id 0
		.amdhsa_next_free_vgpr 169
		.amdhsa_next_free_sgpr 74
		.amdhsa_reserve_vcc 1
		.amdhsa_float_round_mode_32 0
		.amdhsa_float_round_mode_16_64 0
		.amdhsa_float_denorm_mode_32 3
		.amdhsa_float_denorm_mode_16_64 3
		.amdhsa_fp16_overflow 0
		.amdhsa_workgroup_processor_mode 1
		.amdhsa_memory_ordered 1
		.amdhsa_forward_progress 1
		.amdhsa_inst_pref_size 116
		.amdhsa_round_robin_scheduling 0
		.amdhsa_exception_fp_ieee_invalid_op 0
		.amdhsa_exception_fp_denorm_src 0
		.amdhsa_exception_fp_ieee_div_zero 0
		.amdhsa_exception_fp_ieee_overflow 0
		.amdhsa_exception_fp_ieee_underflow 0
		.amdhsa_exception_fp_ieee_inexact 0
		.amdhsa_exception_int_div_zero 0
	.end_amdhsa_kernel
	.section	.text._ZN2ck16tensor_operation6device12_GLOBAL__N_137kernel_grouped_conv_fwd_dl_multiple_dINS_32GridwiseGemmDlMultipleD_km_kn_mnILi256EaiNS_5TupleIJaEEEaNS0_12element_wise11PassThroughES8_NS7_7AddReluELNS_25InMemoryDataOperationEnumE0ENS_16TensorDescriptorINS5_IJNS_5EmbedINS5_IJiiiiiEEESD_Lb0EEENS_11PassThroughIiEENS_3PadIiiiLb0EEESI_SI_SG_SG_NSC_INS5_IJiiEEESJ_Lb0EEESK_SK_SG_NS_23Merge_v2_magic_divisionINS5_IJiiiiEEEEESN_NS_8RightPadIiiLb0EEESP_NS_7UnMergeISJ_Lb0EEESG_EEENS5_IJNS_8SequenceIJLi0EEEENST_IJLi1EEEENST_IJLi2EEEENST_IJLi3EEEENST_IJLi4EEEENST_IJLi5EEEENST_IJLi6EEEENST_IJLi7EEEENST_IJLi8EEEENST_IJLi9EEEENST_IJLi10EEEENST_IJLi11ELi13ELi15ELi17EEEENST_IJLi12ELi14ELi16ELi18EEEENST_IJLi19EEEENST_IJLi20EEEENST_IJLi22EEEENST_IJLi21EEEEEEENS5_IJNST_IJLi1ELi2ELi3ELi4ELi5EEEES10_S11_S12_S13_S14_NST_IJLi11EEEENST_IJLi12ELi13EEEENST_IJLi14ELi15EEEENST_IJLi16ELi17EEEENST_IJLi18EEEES17_S18_S1A_S19_NST_IJLi23ELi24EEEENST_IJLi25EEEEEEENST_IJLi23ELi25ELi24EEEElEENSB_INS5_IJSR_SP_SP_SR_SG_EEENS5_IJSU_SV_SW_SY_SX_EEENS5_IJNST_IJLi1ELi2EEEESX_SY_NST_IJLi5ELi6EEEES11_EEENST_IJLi5ELi7ELi6EEEElEENSB_INS5_IJSK_SP_SP_EEENS5_IJSU_SV_SW_EEENS5_IJS1P_SX_SY_EEENST_IJLi3ELi4EEEElEELi128ELi128ELi16ELi4ELi4ELi4ELi1ENST_IJLi8ELi2EEEES1Z_NST_IJLi8ELi1ELi1ELi4EEEENST_IJLi2ELi1ELi128ELi1EEEENST_IJLi1ELi2ELi0ELi3EEEES22_NST_IJLi4ELi1ELi1ELi4EEEES22_NST_IJLi1ELi1ELi1ELi4EEEES20_S21_S22_S22_S23_S22_S24_NST_IJLi0ELi1ELi2ELi3ELi4ELi5EEEELi5ELi4EEEaNS5_IJPKaEEEaS8_S8_S9_NSB_INS5_IJSE_SG_SI_SI_SI_SG_SG_SK_SK_SK_SG_SN_SN_SP_SP_SR_SG_SG_NSQ_INS5_IJiNS_17integral_constantIiLi128EEEEEELb0EEENSF_INS2A_IiLi4EEEEEEEENS5_IJSU_SV_SW_SX_SY_SZ_S10_S11_S12_S13_S14_S15_S16_S17_S18_S19_S1A_NST_IJLi23EEEES1J_NST_IJLi24EEEEEEENS5_IJS1C_S10_S11_S12_S13_S14_S1D_S1E_S1F_S1G_S1H_S17_S18_S1A_S19_S1I_S1J_NST_IJLi26EEEENST_IJLi27ELi28EEEENST_IJLi29EEEEEEENST_IJLi26ELi27ELi28ELi29EEEElEENSB_INS5_IJSR_SP_SP_SR_SG_SG_S2D_S2F_EEENS5_IJSU_SV_SW_SY_SX_SZ_S11_S10_EEENS5_IJS1P_SX_SY_S1Q_S11_S12_NST_IJLi9ELi10EEEES1D_EEENST_IJLi8ELi9ELi10ELi11EEEElEENS5_IJNSB_INS5_IJSK_SP_SP_NSQ_INS5_IJiNS2A_IiLi2EEENS2A_IiLi64EEEEEELb0EEES2Z_EEENS5_IJSU_SV_SW_SX_SY_EEENS5_IJS1P_SX_SY_NST_IJLi5ELi6ELi7EEEENST_IJLi8ELi9ELi10EEEEEEENST_IJLi5ELi6ELi7ELi8ELi9ELi10EEEElEEEEES36_NS_31BlockToCTileMap_M00_N00_M01_N01ILi128ELi128ES1Y_Lb0EEENS1_30ComputePtrOffsetOfStridedBatchILi1ELi1ELi1EvEELb0ELb0EEEvPKT0_S3E_T1_PT2_T3_T4_T5_iT6_T7_T8_T9_T10_T11_,"axG",@progbits,_ZN2ck16tensor_operation6device12_GLOBAL__N_137kernel_grouped_conv_fwd_dl_multiple_dINS_32GridwiseGemmDlMultipleD_km_kn_mnILi256EaiNS_5TupleIJaEEEaNS0_12element_wise11PassThroughES8_NS7_7AddReluELNS_25InMemoryDataOperationEnumE0ENS_16TensorDescriptorINS5_IJNS_5EmbedINS5_IJiiiiiEEESD_Lb0EEENS_11PassThroughIiEENS_3PadIiiiLb0EEESI_SI_SG_SG_NSC_INS5_IJiiEEESJ_Lb0EEESK_SK_SG_NS_23Merge_v2_magic_divisionINS5_IJiiiiEEEEESN_NS_8RightPadIiiLb0EEESP_NS_7UnMergeISJ_Lb0EEESG_EEENS5_IJNS_8SequenceIJLi0EEEENST_IJLi1EEEENST_IJLi2EEEENST_IJLi3EEEENST_IJLi4EEEENST_IJLi5EEEENST_IJLi6EEEENST_IJLi7EEEENST_IJLi8EEEENST_IJLi9EEEENST_IJLi10EEEENST_IJLi11ELi13ELi15ELi17EEEENST_IJLi12ELi14ELi16ELi18EEEENST_IJLi19EEEENST_IJLi20EEEENST_IJLi22EEEENST_IJLi21EEEEEEENS5_IJNST_IJLi1ELi2ELi3ELi4ELi5EEEES10_S11_S12_S13_S14_NST_IJLi11EEEENST_IJLi12ELi13EEEENST_IJLi14ELi15EEEENST_IJLi16ELi17EEEENST_IJLi18EEEES17_S18_S1A_S19_NST_IJLi23ELi24EEEENST_IJLi25EEEEEEENST_IJLi23ELi25ELi24EEEElEENSB_INS5_IJSR_SP_SP_SR_SG_EEENS5_IJSU_SV_SW_SY_SX_EEENS5_IJNST_IJLi1ELi2EEEESX_SY_NST_IJLi5ELi6EEEES11_EEENST_IJLi5ELi7ELi6EEEElEENSB_INS5_IJSK_SP_SP_EEENS5_IJSU_SV_SW_EEENS5_IJS1P_SX_SY_EEENST_IJLi3ELi4EEEElEELi128ELi128ELi16ELi4ELi4ELi4ELi1ENST_IJLi8ELi2EEEES1Z_NST_IJLi8ELi1ELi1ELi4EEEENST_IJLi2ELi1ELi128ELi1EEEENST_IJLi1ELi2ELi0ELi3EEEES22_NST_IJLi4ELi1ELi1ELi4EEEES22_NST_IJLi1ELi1ELi1ELi4EEEES20_S21_S22_S22_S23_S22_S24_NST_IJLi0ELi1ELi2ELi3ELi4ELi5EEEELi5ELi4EEEaNS5_IJPKaEEEaS8_S8_S9_NSB_INS5_IJSE_SG_SI_SI_SI_SG_SG_SK_SK_SK_SG_SN_SN_SP_SP_SR_SG_SG_NSQ_INS5_IJiNS_17integral_constantIiLi128EEEEEELb0EEENSF_INS2A_IiLi4EEEEEEEENS5_IJSU_SV_SW_SX_SY_SZ_S10_S11_S12_S13_S14_S15_S16_S17_S18_S19_S1A_NST_IJLi23EEEES1J_NST_IJLi24EEEEEEENS5_IJS1C_S10_S11_S12_S13_S14_S1D_S1E_S1F_S1G_S1H_S17_S18_S1A_S19_S1I_S1J_NST_IJLi26EEEENST_IJLi27ELi28EEEENST_IJLi29EEEEEEENST_IJLi26ELi27ELi28ELi29EEEElEENSB_INS5_IJSR_SP_SP_SR_SG_SG_S2D_S2F_EEENS5_IJSU_SV_SW_SY_SX_SZ_S11_S10_EEENS5_IJS1P_SX_SY_S1Q_S11_S12_NST_IJLi9ELi10EEEES1D_EEENST_IJLi8ELi9ELi10ELi11EEEElEENS5_IJNSB_INS5_IJSK_SP_SP_NSQ_INS5_IJiNS2A_IiLi2EEENS2A_IiLi64EEEEEELb0EEES2Z_EEENS5_IJSU_SV_SW_SX_SY_EEENS5_IJS1P_SX_SY_NST_IJLi5ELi6ELi7EEEENST_IJLi8ELi9ELi10EEEEEEENST_IJLi5ELi6ELi7ELi8ELi9ELi10EEEElEEEEES36_NS_31BlockToCTileMap_M00_N00_M01_N01ILi128ELi128ES1Y_Lb0EEENS1_30ComputePtrOffsetOfStridedBatchILi1ELi1ELi1EvEELb0ELb0EEEvPKT0_S3E_T1_PT2_T3_T4_T5_iT6_T7_T8_T9_T10_T11_,comdat
.Lfunc_end12:
	.size	_ZN2ck16tensor_operation6device12_GLOBAL__N_137kernel_grouped_conv_fwd_dl_multiple_dINS_32GridwiseGemmDlMultipleD_km_kn_mnILi256EaiNS_5TupleIJaEEEaNS0_12element_wise11PassThroughES8_NS7_7AddReluELNS_25InMemoryDataOperationEnumE0ENS_16TensorDescriptorINS5_IJNS_5EmbedINS5_IJiiiiiEEESD_Lb0EEENS_11PassThroughIiEENS_3PadIiiiLb0EEESI_SI_SG_SG_NSC_INS5_IJiiEEESJ_Lb0EEESK_SK_SG_NS_23Merge_v2_magic_divisionINS5_IJiiiiEEEEESN_NS_8RightPadIiiLb0EEESP_NS_7UnMergeISJ_Lb0EEESG_EEENS5_IJNS_8SequenceIJLi0EEEENST_IJLi1EEEENST_IJLi2EEEENST_IJLi3EEEENST_IJLi4EEEENST_IJLi5EEEENST_IJLi6EEEENST_IJLi7EEEENST_IJLi8EEEENST_IJLi9EEEENST_IJLi10EEEENST_IJLi11ELi13ELi15ELi17EEEENST_IJLi12ELi14ELi16ELi18EEEENST_IJLi19EEEENST_IJLi20EEEENST_IJLi22EEEENST_IJLi21EEEEEEENS5_IJNST_IJLi1ELi2ELi3ELi4ELi5EEEES10_S11_S12_S13_S14_NST_IJLi11EEEENST_IJLi12ELi13EEEENST_IJLi14ELi15EEEENST_IJLi16ELi17EEEENST_IJLi18EEEES17_S18_S1A_S19_NST_IJLi23ELi24EEEENST_IJLi25EEEEEEENST_IJLi23ELi25ELi24EEEElEENSB_INS5_IJSR_SP_SP_SR_SG_EEENS5_IJSU_SV_SW_SY_SX_EEENS5_IJNST_IJLi1ELi2EEEESX_SY_NST_IJLi5ELi6EEEES11_EEENST_IJLi5ELi7ELi6EEEElEENSB_INS5_IJSK_SP_SP_EEENS5_IJSU_SV_SW_EEENS5_IJS1P_SX_SY_EEENST_IJLi3ELi4EEEElEELi128ELi128ELi16ELi4ELi4ELi4ELi1ENST_IJLi8ELi2EEEES1Z_NST_IJLi8ELi1ELi1ELi4EEEENST_IJLi2ELi1ELi128ELi1EEEENST_IJLi1ELi2ELi0ELi3EEEES22_NST_IJLi4ELi1ELi1ELi4EEEES22_NST_IJLi1ELi1ELi1ELi4EEEES20_S21_S22_S22_S23_S22_S24_NST_IJLi0ELi1ELi2ELi3ELi4ELi5EEEELi5ELi4EEEaNS5_IJPKaEEEaS8_S8_S9_NSB_INS5_IJSE_SG_SI_SI_SI_SG_SG_SK_SK_SK_SG_SN_SN_SP_SP_SR_SG_SG_NSQ_INS5_IJiNS_17integral_constantIiLi128EEEEEELb0EEENSF_INS2A_IiLi4EEEEEEEENS5_IJSU_SV_SW_SX_SY_SZ_S10_S11_S12_S13_S14_S15_S16_S17_S18_S19_S1A_NST_IJLi23EEEES1J_NST_IJLi24EEEEEEENS5_IJS1C_S10_S11_S12_S13_S14_S1D_S1E_S1F_S1G_S1H_S17_S18_S1A_S19_S1I_S1J_NST_IJLi26EEEENST_IJLi27ELi28EEEENST_IJLi29EEEEEEENST_IJLi26ELi27ELi28ELi29EEEElEENSB_INS5_IJSR_SP_SP_SR_SG_SG_S2D_S2F_EEENS5_IJSU_SV_SW_SY_SX_SZ_S11_S10_EEENS5_IJS1P_SX_SY_S1Q_S11_S12_NST_IJLi9ELi10EEEES1D_EEENST_IJLi8ELi9ELi10ELi11EEEElEENS5_IJNSB_INS5_IJSK_SP_SP_NSQ_INS5_IJiNS2A_IiLi2EEENS2A_IiLi64EEEEEELb0EEES2Z_EEENS5_IJSU_SV_SW_SX_SY_EEENS5_IJS1P_SX_SY_NST_IJLi5ELi6ELi7EEEENST_IJLi8ELi9ELi10EEEEEEENST_IJLi5ELi6ELi7ELi8ELi9ELi10EEEElEEEEES36_NS_31BlockToCTileMap_M00_N00_M01_N01ILi128ELi128ES1Y_Lb0EEENS1_30ComputePtrOffsetOfStridedBatchILi1ELi1ELi1EvEELb0ELb0EEEvPKT0_S3E_T1_PT2_T3_T4_T5_iT6_T7_T8_T9_T10_T11_, .Lfunc_end12-_ZN2ck16tensor_operation6device12_GLOBAL__N_137kernel_grouped_conv_fwd_dl_multiple_dINS_32GridwiseGemmDlMultipleD_km_kn_mnILi256EaiNS_5TupleIJaEEEaNS0_12element_wise11PassThroughES8_NS7_7AddReluELNS_25InMemoryDataOperationEnumE0ENS_16TensorDescriptorINS5_IJNS_5EmbedINS5_IJiiiiiEEESD_Lb0EEENS_11PassThroughIiEENS_3PadIiiiLb0EEESI_SI_SG_SG_NSC_INS5_IJiiEEESJ_Lb0EEESK_SK_SG_NS_23Merge_v2_magic_divisionINS5_IJiiiiEEEEESN_NS_8RightPadIiiLb0EEESP_NS_7UnMergeISJ_Lb0EEESG_EEENS5_IJNS_8SequenceIJLi0EEEENST_IJLi1EEEENST_IJLi2EEEENST_IJLi3EEEENST_IJLi4EEEENST_IJLi5EEEENST_IJLi6EEEENST_IJLi7EEEENST_IJLi8EEEENST_IJLi9EEEENST_IJLi10EEEENST_IJLi11ELi13ELi15ELi17EEEENST_IJLi12ELi14ELi16ELi18EEEENST_IJLi19EEEENST_IJLi20EEEENST_IJLi22EEEENST_IJLi21EEEEEEENS5_IJNST_IJLi1ELi2ELi3ELi4ELi5EEEES10_S11_S12_S13_S14_NST_IJLi11EEEENST_IJLi12ELi13EEEENST_IJLi14ELi15EEEENST_IJLi16ELi17EEEENST_IJLi18EEEES17_S18_S1A_S19_NST_IJLi23ELi24EEEENST_IJLi25EEEEEEENST_IJLi23ELi25ELi24EEEElEENSB_INS5_IJSR_SP_SP_SR_SG_EEENS5_IJSU_SV_SW_SY_SX_EEENS5_IJNST_IJLi1ELi2EEEESX_SY_NST_IJLi5ELi6EEEES11_EEENST_IJLi5ELi7ELi6EEEElEENSB_INS5_IJSK_SP_SP_EEENS5_IJSU_SV_SW_EEENS5_IJS1P_SX_SY_EEENST_IJLi3ELi4EEEElEELi128ELi128ELi16ELi4ELi4ELi4ELi1ENST_IJLi8ELi2EEEES1Z_NST_IJLi8ELi1ELi1ELi4EEEENST_IJLi2ELi1ELi128ELi1EEEENST_IJLi1ELi2ELi0ELi3EEEES22_NST_IJLi4ELi1ELi1ELi4EEEES22_NST_IJLi1ELi1ELi1ELi4EEEES20_S21_S22_S22_S23_S22_S24_NST_IJLi0ELi1ELi2ELi3ELi4ELi5EEEELi5ELi4EEEaNS5_IJPKaEEEaS8_S8_S9_NSB_INS5_IJSE_SG_SI_SI_SI_SG_SG_SK_SK_SK_SG_SN_SN_SP_SP_SR_SG_SG_NSQ_INS5_IJiNS_17integral_constantIiLi128EEEEEELb0EEENSF_INS2A_IiLi4EEEEEEEENS5_IJSU_SV_SW_SX_SY_SZ_S10_S11_S12_S13_S14_S15_S16_S17_S18_S19_S1A_NST_IJLi23EEEES1J_NST_IJLi24EEEEEEENS5_IJS1C_S10_S11_S12_S13_S14_S1D_S1E_S1F_S1G_S1H_S17_S18_S1A_S19_S1I_S1J_NST_IJLi26EEEENST_IJLi27ELi28EEEENST_IJLi29EEEEEEENST_IJLi26ELi27ELi28ELi29EEEElEENSB_INS5_IJSR_SP_SP_SR_SG_SG_S2D_S2F_EEENS5_IJSU_SV_SW_SY_SX_SZ_S11_S10_EEENS5_IJS1P_SX_SY_S1Q_S11_S12_NST_IJLi9ELi10EEEES1D_EEENST_IJLi8ELi9ELi10ELi11EEEElEENS5_IJNSB_INS5_IJSK_SP_SP_NSQ_INS5_IJiNS2A_IiLi2EEENS2A_IiLi64EEEEEELb0EEES2Z_EEENS5_IJSU_SV_SW_SX_SY_EEENS5_IJS1P_SX_SY_NST_IJLi5ELi6ELi7EEEENST_IJLi8ELi9ELi10EEEEEEENST_IJLi5ELi6ELi7ELi8ELi9ELi10EEEElEEEEES36_NS_31BlockToCTileMap_M00_N00_M01_N01ILi128ELi128ES1Y_Lb0EEENS1_30ComputePtrOffsetOfStridedBatchILi1ELi1ELi1EvEELb0ELb0EEEvPKT0_S3E_T1_PT2_T3_T4_T5_iT6_T7_T8_T9_T10_T11_
                                        ; -- End function
	.set _ZN2ck16tensor_operation6device12_GLOBAL__N_137kernel_grouped_conv_fwd_dl_multiple_dINS_32GridwiseGemmDlMultipleD_km_kn_mnILi256EaiNS_5TupleIJaEEEaNS0_12element_wise11PassThroughES8_NS7_7AddReluELNS_25InMemoryDataOperationEnumE0ENS_16TensorDescriptorINS5_IJNS_5EmbedINS5_IJiiiiiEEESD_Lb0EEENS_11PassThroughIiEENS_3PadIiiiLb0EEESI_SI_SG_SG_NSC_INS5_IJiiEEESJ_Lb0EEESK_SK_SG_NS_23Merge_v2_magic_divisionINS5_IJiiiiEEEEESN_NS_8RightPadIiiLb0EEESP_NS_7UnMergeISJ_Lb0EEESG_EEENS5_IJNS_8SequenceIJLi0EEEENST_IJLi1EEEENST_IJLi2EEEENST_IJLi3EEEENST_IJLi4EEEENST_IJLi5EEEENST_IJLi6EEEENST_IJLi7EEEENST_IJLi8EEEENST_IJLi9EEEENST_IJLi10EEEENST_IJLi11ELi13ELi15ELi17EEEENST_IJLi12ELi14ELi16ELi18EEEENST_IJLi19EEEENST_IJLi20EEEENST_IJLi22EEEENST_IJLi21EEEEEEENS5_IJNST_IJLi1ELi2ELi3ELi4ELi5EEEES10_S11_S12_S13_S14_NST_IJLi11EEEENST_IJLi12ELi13EEEENST_IJLi14ELi15EEEENST_IJLi16ELi17EEEENST_IJLi18EEEES17_S18_S1A_S19_NST_IJLi23ELi24EEEENST_IJLi25EEEEEEENST_IJLi23ELi25ELi24EEEElEENSB_INS5_IJSR_SP_SP_SR_SG_EEENS5_IJSU_SV_SW_SY_SX_EEENS5_IJNST_IJLi1ELi2EEEESX_SY_NST_IJLi5ELi6EEEES11_EEENST_IJLi5ELi7ELi6EEEElEENSB_INS5_IJSK_SP_SP_EEENS5_IJSU_SV_SW_EEENS5_IJS1P_SX_SY_EEENST_IJLi3ELi4EEEElEELi128ELi128ELi16ELi4ELi4ELi4ELi1ENST_IJLi8ELi2EEEES1Z_NST_IJLi8ELi1ELi1ELi4EEEENST_IJLi2ELi1ELi128ELi1EEEENST_IJLi1ELi2ELi0ELi3EEEES22_NST_IJLi4ELi1ELi1ELi4EEEES22_NST_IJLi1ELi1ELi1ELi4EEEES20_S21_S22_S22_S23_S22_S24_NST_IJLi0ELi1ELi2ELi3ELi4ELi5EEEELi5ELi4EEEaNS5_IJPKaEEEaS8_S8_S9_NSB_INS5_IJSE_SG_SI_SI_SI_SG_SG_SK_SK_SK_SG_SN_SN_SP_SP_SR_SG_SG_NSQ_INS5_IJiNS_17integral_constantIiLi128EEEEEELb0EEENSF_INS2A_IiLi4EEEEEEEENS5_IJSU_SV_SW_SX_SY_SZ_S10_S11_S12_S13_S14_S15_S16_S17_S18_S19_S1A_NST_IJLi23EEEES1J_NST_IJLi24EEEEEEENS5_IJS1C_S10_S11_S12_S13_S14_S1D_S1E_S1F_S1G_S1H_S17_S18_S1A_S19_S1I_S1J_NST_IJLi26EEEENST_IJLi27ELi28EEEENST_IJLi29EEEEEEENST_IJLi26ELi27ELi28ELi29EEEElEENSB_INS5_IJSR_SP_SP_SR_SG_SG_S2D_S2F_EEENS5_IJSU_SV_SW_SY_SX_SZ_S11_S10_EEENS5_IJS1P_SX_SY_S1Q_S11_S12_NST_IJLi9ELi10EEEES1D_EEENST_IJLi8ELi9ELi10ELi11EEEElEENS5_IJNSB_INS5_IJSK_SP_SP_NSQ_INS5_IJiNS2A_IiLi2EEENS2A_IiLi64EEEEEELb0EEES2Z_EEENS5_IJSU_SV_SW_SX_SY_EEENS5_IJS1P_SX_SY_NST_IJLi5ELi6ELi7EEEENST_IJLi8ELi9ELi10EEEEEEENST_IJLi5ELi6ELi7ELi8ELi9ELi10EEEElEEEEES36_NS_31BlockToCTileMap_M00_N00_M01_N01ILi128ELi128ES1Y_Lb0EEENS1_30ComputePtrOffsetOfStridedBatchILi1ELi1ELi1EvEELb0ELb0EEEvPKT0_S3E_T1_PT2_T3_T4_T5_iT6_T7_T8_T9_T10_T11_.num_vgpr, 137
	.set _ZN2ck16tensor_operation6device12_GLOBAL__N_137kernel_grouped_conv_fwd_dl_multiple_dINS_32GridwiseGemmDlMultipleD_km_kn_mnILi256EaiNS_5TupleIJaEEEaNS0_12element_wise11PassThroughES8_NS7_7AddReluELNS_25InMemoryDataOperationEnumE0ENS_16TensorDescriptorINS5_IJNS_5EmbedINS5_IJiiiiiEEESD_Lb0EEENS_11PassThroughIiEENS_3PadIiiiLb0EEESI_SI_SG_SG_NSC_INS5_IJiiEEESJ_Lb0EEESK_SK_SG_NS_23Merge_v2_magic_divisionINS5_IJiiiiEEEEESN_NS_8RightPadIiiLb0EEESP_NS_7UnMergeISJ_Lb0EEESG_EEENS5_IJNS_8SequenceIJLi0EEEENST_IJLi1EEEENST_IJLi2EEEENST_IJLi3EEEENST_IJLi4EEEENST_IJLi5EEEENST_IJLi6EEEENST_IJLi7EEEENST_IJLi8EEEENST_IJLi9EEEENST_IJLi10EEEENST_IJLi11ELi13ELi15ELi17EEEENST_IJLi12ELi14ELi16ELi18EEEENST_IJLi19EEEENST_IJLi20EEEENST_IJLi22EEEENST_IJLi21EEEEEEENS5_IJNST_IJLi1ELi2ELi3ELi4ELi5EEEES10_S11_S12_S13_S14_NST_IJLi11EEEENST_IJLi12ELi13EEEENST_IJLi14ELi15EEEENST_IJLi16ELi17EEEENST_IJLi18EEEES17_S18_S1A_S19_NST_IJLi23ELi24EEEENST_IJLi25EEEEEEENST_IJLi23ELi25ELi24EEEElEENSB_INS5_IJSR_SP_SP_SR_SG_EEENS5_IJSU_SV_SW_SY_SX_EEENS5_IJNST_IJLi1ELi2EEEESX_SY_NST_IJLi5ELi6EEEES11_EEENST_IJLi5ELi7ELi6EEEElEENSB_INS5_IJSK_SP_SP_EEENS5_IJSU_SV_SW_EEENS5_IJS1P_SX_SY_EEENST_IJLi3ELi4EEEElEELi128ELi128ELi16ELi4ELi4ELi4ELi1ENST_IJLi8ELi2EEEES1Z_NST_IJLi8ELi1ELi1ELi4EEEENST_IJLi2ELi1ELi128ELi1EEEENST_IJLi1ELi2ELi0ELi3EEEES22_NST_IJLi4ELi1ELi1ELi4EEEES22_NST_IJLi1ELi1ELi1ELi4EEEES20_S21_S22_S22_S23_S22_S24_NST_IJLi0ELi1ELi2ELi3ELi4ELi5EEEELi5ELi4EEEaNS5_IJPKaEEEaS8_S8_S9_NSB_INS5_IJSE_SG_SI_SI_SI_SG_SG_SK_SK_SK_SG_SN_SN_SP_SP_SR_SG_SG_NSQ_INS5_IJiNS_17integral_constantIiLi128EEEEEELb0EEENSF_INS2A_IiLi4EEEEEEEENS5_IJSU_SV_SW_SX_SY_SZ_S10_S11_S12_S13_S14_S15_S16_S17_S18_S19_S1A_NST_IJLi23EEEES1J_NST_IJLi24EEEEEEENS5_IJS1C_S10_S11_S12_S13_S14_S1D_S1E_S1F_S1G_S1H_S17_S18_S1A_S19_S1I_S1J_NST_IJLi26EEEENST_IJLi27ELi28EEEENST_IJLi29EEEEEEENST_IJLi26ELi27ELi28ELi29EEEElEENSB_INS5_IJSR_SP_SP_SR_SG_SG_S2D_S2F_EEENS5_IJSU_SV_SW_SY_SX_SZ_S11_S10_EEENS5_IJS1P_SX_SY_S1Q_S11_S12_NST_IJLi9ELi10EEEES1D_EEENST_IJLi8ELi9ELi10ELi11EEEElEENS5_IJNSB_INS5_IJSK_SP_SP_NSQ_INS5_IJiNS2A_IiLi2EEENS2A_IiLi64EEEEEELb0EEES2Z_EEENS5_IJSU_SV_SW_SX_SY_EEENS5_IJS1P_SX_SY_NST_IJLi5ELi6ELi7EEEENST_IJLi8ELi9ELi10EEEEEEENST_IJLi5ELi6ELi7ELi8ELi9ELi10EEEElEEEEES36_NS_31BlockToCTileMap_M00_N00_M01_N01ILi128ELi128ES1Y_Lb0EEENS1_30ComputePtrOffsetOfStridedBatchILi1ELi1ELi1EvEELb0ELb0EEEvPKT0_S3E_T1_PT2_T3_T4_T5_iT6_T7_T8_T9_T10_T11_.num_agpr, 0
	.set _ZN2ck16tensor_operation6device12_GLOBAL__N_137kernel_grouped_conv_fwd_dl_multiple_dINS_32GridwiseGemmDlMultipleD_km_kn_mnILi256EaiNS_5TupleIJaEEEaNS0_12element_wise11PassThroughES8_NS7_7AddReluELNS_25InMemoryDataOperationEnumE0ENS_16TensorDescriptorINS5_IJNS_5EmbedINS5_IJiiiiiEEESD_Lb0EEENS_11PassThroughIiEENS_3PadIiiiLb0EEESI_SI_SG_SG_NSC_INS5_IJiiEEESJ_Lb0EEESK_SK_SG_NS_23Merge_v2_magic_divisionINS5_IJiiiiEEEEESN_NS_8RightPadIiiLb0EEESP_NS_7UnMergeISJ_Lb0EEESG_EEENS5_IJNS_8SequenceIJLi0EEEENST_IJLi1EEEENST_IJLi2EEEENST_IJLi3EEEENST_IJLi4EEEENST_IJLi5EEEENST_IJLi6EEEENST_IJLi7EEEENST_IJLi8EEEENST_IJLi9EEEENST_IJLi10EEEENST_IJLi11ELi13ELi15ELi17EEEENST_IJLi12ELi14ELi16ELi18EEEENST_IJLi19EEEENST_IJLi20EEEENST_IJLi22EEEENST_IJLi21EEEEEEENS5_IJNST_IJLi1ELi2ELi3ELi4ELi5EEEES10_S11_S12_S13_S14_NST_IJLi11EEEENST_IJLi12ELi13EEEENST_IJLi14ELi15EEEENST_IJLi16ELi17EEEENST_IJLi18EEEES17_S18_S1A_S19_NST_IJLi23ELi24EEEENST_IJLi25EEEEEEENST_IJLi23ELi25ELi24EEEElEENSB_INS5_IJSR_SP_SP_SR_SG_EEENS5_IJSU_SV_SW_SY_SX_EEENS5_IJNST_IJLi1ELi2EEEESX_SY_NST_IJLi5ELi6EEEES11_EEENST_IJLi5ELi7ELi6EEEElEENSB_INS5_IJSK_SP_SP_EEENS5_IJSU_SV_SW_EEENS5_IJS1P_SX_SY_EEENST_IJLi3ELi4EEEElEELi128ELi128ELi16ELi4ELi4ELi4ELi1ENST_IJLi8ELi2EEEES1Z_NST_IJLi8ELi1ELi1ELi4EEEENST_IJLi2ELi1ELi128ELi1EEEENST_IJLi1ELi2ELi0ELi3EEEES22_NST_IJLi4ELi1ELi1ELi4EEEES22_NST_IJLi1ELi1ELi1ELi4EEEES20_S21_S22_S22_S23_S22_S24_NST_IJLi0ELi1ELi2ELi3ELi4ELi5EEEELi5ELi4EEEaNS5_IJPKaEEEaS8_S8_S9_NSB_INS5_IJSE_SG_SI_SI_SI_SG_SG_SK_SK_SK_SG_SN_SN_SP_SP_SR_SG_SG_NSQ_INS5_IJiNS_17integral_constantIiLi128EEEEEELb0EEENSF_INS2A_IiLi4EEEEEEEENS5_IJSU_SV_SW_SX_SY_SZ_S10_S11_S12_S13_S14_S15_S16_S17_S18_S19_S1A_NST_IJLi23EEEES1J_NST_IJLi24EEEEEEENS5_IJS1C_S10_S11_S12_S13_S14_S1D_S1E_S1F_S1G_S1H_S17_S18_S1A_S19_S1I_S1J_NST_IJLi26EEEENST_IJLi27ELi28EEEENST_IJLi29EEEEEEENST_IJLi26ELi27ELi28ELi29EEEElEENSB_INS5_IJSR_SP_SP_SR_SG_SG_S2D_S2F_EEENS5_IJSU_SV_SW_SY_SX_SZ_S11_S10_EEENS5_IJS1P_SX_SY_S1Q_S11_S12_NST_IJLi9ELi10EEEES1D_EEENST_IJLi8ELi9ELi10ELi11EEEElEENS5_IJNSB_INS5_IJSK_SP_SP_NSQ_INS5_IJiNS2A_IiLi2EEENS2A_IiLi64EEEEEELb0EEES2Z_EEENS5_IJSU_SV_SW_SX_SY_EEENS5_IJS1P_SX_SY_NST_IJLi5ELi6ELi7EEEENST_IJLi8ELi9ELi10EEEEEEENST_IJLi5ELi6ELi7ELi8ELi9ELi10EEEElEEEEES36_NS_31BlockToCTileMap_M00_N00_M01_N01ILi128ELi128ES1Y_Lb0EEENS1_30ComputePtrOffsetOfStridedBatchILi1ELi1ELi1EvEELb0ELb0EEEvPKT0_S3E_T1_PT2_T3_T4_T5_iT6_T7_T8_T9_T10_T11_.numbered_sgpr, 74
	.set _ZN2ck16tensor_operation6device12_GLOBAL__N_137kernel_grouped_conv_fwd_dl_multiple_dINS_32GridwiseGemmDlMultipleD_km_kn_mnILi256EaiNS_5TupleIJaEEEaNS0_12element_wise11PassThroughES8_NS7_7AddReluELNS_25InMemoryDataOperationEnumE0ENS_16TensorDescriptorINS5_IJNS_5EmbedINS5_IJiiiiiEEESD_Lb0EEENS_11PassThroughIiEENS_3PadIiiiLb0EEESI_SI_SG_SG_NSC_INS5_IJiiEEESJ_Lb0EEESK_SK_SG_NS_23Merge_v2_magic_divisionINS5_IJiiiiEEEEESN_NS_8RightPadIiiLb0EEESP_NS_7UnMergeISJ_Lb0EEESG_EEENS5_IJNS_8SequenceIJLi0EEEENST_IJLi1EEEENST_IJLi2EEEENST_IJLi3EEEENST_IJLi4EEEENST_IJLi5EEEENST_IJLi6EEEENST_IJLi7EEEENST_IJLi8EEEENST_IJLi9EEEENST_IJLi10EEEENST_IJLi11ELi13ELi15ELi17EEEENST_IJLi12ELi14ELi16ELi18EEEENST_IJLi19EEEENST_IJLi20EEEENST_IJLi22EEEENST_IJLi21EEEEEEENS5_IJNST_IJLi1ELi2ELi3ELi4ELi5EEEES10_S11_S12_S13_S14_NST_IJLi11EEEENST_IJLi12ELi13EEEENST_IJLi14ELi15EEEENST_IJLi16ELi17EEEENST_IJLi18EEEES17_S18_S1A_S19_NST_IJLi23ELi24EEEENST_IJLi25EEEEEEENST_IJLi23ELi25ELi24EEEElEENSB_INS5_IJSR_SP_SP_SR_SG_EEENS5_IJSU_SV_SW_SY_SX_EEENS5_IJNST_IJLi1ELi2EEEESX_SY_NST_IJLi5ELi6EEEES11_EEENST_IJLi5ELi7ELi6EEEElEENSB_INS5_IJSK_SP_SP_EEENS5_IJSU_SV_SW_EEENS5_IJS1P_SX_SY_EEENST_IJLi3ELi4EEEElEELi128ELi128ELi16ELi4ELi4ELi4ELi1ENST_IJLi8ELi2EEEES1Z_NST_IJLi8ELi1ELi1ELi4EEEENST_IJLi2ELi1ELi128ELi1EEEENST_IJLi1ELi2ELi0ELi3EEEES22_NST_IJLi4ELi1ELi1ELi4EEEES22_NST_IJLi1ELi1ELi1ELi4EEEES20_S21_S22_S22_S23_S22_S24_NST_IJLi0ELi1ELi2ELi3ELi4ELi5EEEELi5ELi4EEEaNS5_IJPKaEEEaS8_S8_S9_NSB_INS5_IJSE_SG_SI_SI_SI_SG_SG_SK_SK_SK_SG_SN_SN_SP_SP_SR_SG_SG_NSQ_INS5_IJiNS_17integral_constantIiLi128EEEEEELb0EEENSF_INS2A_IiLi4EEEEEEEENS5_IJSU_SV_SW_SX_SY_SZ_S10_S11_S12_S13_S14_S15_S16_S17_S18_S19_S1A_NST_IJLi23EEEES1J_NST_IJLi24EEEEEEENS5_IJS1C_S10_S11_S12_S13_S14_S1D_S1E_S1F_S1G_S1H_S17_S18_S1A_S19_S1I_S1J_NST_IJLi26EEEENST_IJLi27ELi28EEEENST_IJLi29EEEEEEENST_IJLi26ELi27ELi28ELi29EEEElEENSB_INS5_IJSR_SP_SP_SR_SG_SG_S2D_S2F_EEENS5_IJSU_SV_SW_SY_SX_SZ_S11_S10_EEENS5_IJS1P_SX_SY_S1Q_S11_S12_NST_IJLi9ELi10EEEES1D_EEENST_IJLi8ELi9ELi10ELi11EEEElEENS5_IJNSB_INS5_IJSK_SP_SP_NSQ_INS5_IJiNS2A_IiLi2EEENS2A_IiLi64EEEEEELb0EEES2Z_EEENS5_IJSU_SV_SW_SX_SY_EEENS5_IJS1P_SX_SY_NST_IJLi5ELi6ELi7EEEENST_IJLi8ELi9ELi10EEEEEEENST_IJLi5ELi6ELi7ELi8ELi9ELi10EEEElEEEEES36_NS_31BlockToCTileMap_M00_N00_M01_N01ILi128ELi128ES1Y_Lb0EEENS1_30ComputePtrOffsetOfStridedBatchILi1ELi1ELi1EvEELb0ELb0EEEvPKT0_S3E_T1_PT2_T3_T4_T5_iT6_T7_T8_T9_T10_T11_.num_named_barrier, 0
	.set _ZN2ck16tensor_operation6device12_GLOBAL__N_137kernel_grouped_conv_fwd_dl_multiple_dINS_32GridwiseGemmDlMultipleD_km_kn_mnILi256EaiNS_5TupleIJaEEEaNS0_12element_wise11PassThroughES8_NS7_7AddReluELNS_25InMemoryDataOperationEnumE0ENS_16TensorDescriptorINS5_IJNS_5EmbedINS5_IJiiiiiEEESD_Lb0EEENS_11PassThroughIiEENS_3PadIiiiLb0EEESI_SI_SG_SG_NSC_INS5_IJiiEEESJ_Lb0EEESK_SK_SG_NS_23Merge_v2_magic_divisionINS5_IJiiiiEEEEESN_NS_8RightPadIiiLb0EEESP_NS_7UnMergeISJ_Lb0EEESG_EEENS5_IJNS_8SequenceIJLi0EEEENST_IJLi1EEEENST_IJLi2EEEENST_IJLi3EEEENST_IJLi4EEEENST_IJLi5EEEENST_IJLi6EEEENST_IJLi7EEEENST_IJLi8EEEENST_IJLi9EEEENST_IJLi10EEEENST_IJLi11ELi13ELi15ELi17EEEENST_IJLi12ELi14ELi16ELi18EEEENST_IJLi19EEEENST_IJLi20EEEENST_IJLi22EEEENST_IJLi21EEEEEEENS5_IJNST_IJLi1ELi2ELi3ELi4ELi5EEEES10_S11_S12_S13_S14_NST_IJLi11EEEENST_IJLi12ELi13EEEENST_IJLi14ELi15EEEENST_IJLi16ELi17EEEENST_IJLi18EEEES17_S18_S1A_S19_NST_IJLi23ELi24EEEENST_IJLi25EEEEEEENST_IJLi23ELi25ELi24EEEElEENSB_INS5_IJSR_SP_SP_SR_SG_EEENS5_IJSU_SV_SW_SY_SX_EEENS5_IJNST_IJLi1ELi2EEEESX_SY_NST_IJLi5ELi6EEEES11_EEENST_IJLi5ELi7ELi6EEEElEENSB_INS5_IJSK_SP_SP_EEENS5_IJSU_SV_SW_EEENS5_IJS1P_SX_SY_EEENST_IJLi3ELi4EEEElEELi128ELi128ELi16ELi4ELi4ELi4ELi1ENST_IJLi8ELi2EEEES1Z_NST_IJLi8ELi1ELi1ELi4EEEENST_IJLi2ELi1ELi128ELi1EEEENST_IJLi1ELi2ELi0ELi3EEEES22_NST_IJLi4ELi1ELi1ELi4EEEES22_NST_IJLi1ELi1ELi1ELi4EEEES20_S21_S22_S22_S23_S22_S24_NST_IJLi0ELi1ELi2ELi3ELi4ELi5EEEELi5ELi4EEEaNS5_IJPKaEEEaS8_S8_S9_NSB_INS5_IJSE_SG_SI_SI_SI_SG_SG_SK_SK_SK_SG_SN_SN_SP_SP_SR_SG_SG_NSQ_INS5_IJiNS_17integral_constantIiLi128EEEEEELb0EEENSF_INS2A_IiLi4EEEEEEEENS5_IJSU_SV_SW_SX_SY_SZ_S10_S11_S12_S13_S14_S15_S16_S17_S18_S19_S1A_NST_IJLi23EEEES1J_NST_IJLi24EEEEEEENS5_IJS1C_S10_S11_S12_S13_S14_S1D_S1E_S1F_S1G_S1H_S17_S18_S1A_S19_S1I_S1J_NST_IJLi26EEEENST_IJLi27ELi28EEEENST_IJLi29EEEEEEENST_IJLi26ELi27ELi28ELi29EEEElEENSB_INS5_IJSR_SP_SP_SR_SG_SG_S2D_S2F_EEENS5_IJSU_SV_SW_SY_SX_SZ_S11_S10_EEENS5_IJS1P_SX_SY_S1Q_S11_S12_NST_IJLi9ELi10EEEES1D_EEENST_IJLi8ELi9ELi10ELi11EEEElEENS5_IJNSB_INS5_IJSK_SP_SP_NSQ_INS5_IJiNS2A_IiLi2EEENS2A_IiLi64EEEEEELb0EEES2Z_EEENS5_IJSU_SV_SW_SX_SY_EEENS5_IJS1P_SX_SY_NST_IJLi5ELi6ELi7EEEENST_IJLi8ELi9ELi10EEEEEEENST_IJLi5ELi6ELi7ELi8ELi9ELi10EEEElEEEEES36_NS_31BlockToCTileMap_M00_N00_M01_N01ILi128ELi128ES1Y_Lb0EEENS1_30ComputePtrOffsetOfStridedBatchILi1ELi1ELi1EvEELb0ELb0EEEvPKT0_S3E_T1_PT2_T3_T4_T5_iT6_T7_T8_T9_T10_T11_.private_seg_size, 0
	.set _ZN2ck16tensor_operation6device12_GLOBAL__N_137kernel_grouped_conv_fwd_dl_multiple_dINS_32GridwiseGemmDlMultipleD_km_kn_mnILi256EaiNS_5TupleIJaEEEaNS0_12element_wise11PassThroughES8_NS7_7AddReluELNS_25InMemoryDataOperationEnumE0ENS_16TensorDescriptorINS5_IJNS_5EmbedINS5_IJiiiiiEEESD_Lb0EEENS_11PassThroughIiEENS_3PadIiiiLb0EEESI_SI_SG_SG_NSC_INS5_IJiiEEESJ_Lb0EEESK_SK_SG_NS_23Merge_v2_magic_divisionINS5_IJiiiiEEEEESN_NS_8RightPadIiiLb0EEESP_NS_7UnMergeISJ_Lb0EEESG_EEENS5_IJNS_8SequenceIJLi0EEEENST_IJLi1EEEENST_IJLi2EEEENST_IJLi3EEEENST_IJLi4EEEENST_IJLi5EEEENST_IJLi6EEEENST_IJLi7EEEENST_IJLi8EEEENST_IJLi9EEEENST_IJLi10EEEENST_IJLi11ELi13ELi15ELi17EEEENST_IJLi12ELi14ELi16ELi18EEEENST_IJLi19EEEENST_IJLi20EEEENST_IJLi22EEEENST_IJLi21EEEEEEENS5_IJNST_IJLi1ELi2ELi3ELi4ELi5EEEES10_S11_S12_S13_S14_NST_IJLi11EEEENST_IJLi12ELi13EEEENST_IJLi14ELi15EEEENST_IJLi16ELi17EEEENST_IJLi18EEEES17_S18_S1A_S19_NST_IJLi23ELi24EEEENST_IJLi25EEEEEEENST_IJLi23ELi25ELi24EEEElEENSB_INS5_IJSR_SP_SP_SR_SG_EEENS5_IJSU_SV_SW_SY_SX_EEENS5_IJNST_IJLi1ELi2EEEESX_SY_NST_IJLi5ELi6EEEES11_EEENST_IJLi5ELi7ELi6EEEElEENSB_INS5_IJSK_SP_SP_EEENS5_IJSU_SV_SW_EEENS5_IJS1P_SX_SY_EEENST_IJLi3ELi4EEEElEELi128ELi128ELi16ELi4ELi4ELi4ELi1ENST_IJLi8ELi2EEEES1Z_NST_IJLi8ELi1ELi1ELi4EEEENST_IJLi2ELi1ELi128ELi1EEEENST_IJLi1ELi2ELi0ELi3EEEES22_NST_IJLi4ELi1ELi1ELi4EEEES22_NST_IJLi1ELi1ELi1ELi4EEEES20_S21_S22_S22_S23_S22_S24_NST_IJLi0ELi1ELi2ELi3ELi4ELi5EEEELi5ELi4EEEaNS5_IJPKaEEEaS8_S8_S9_NSB_INS5_IJSE_SG_SI_SI_SI_SG_SG_SK_SK_SK_SG_SN_SN_SP_SP_SR_SG_SG_NSQ_INS5_IJiNS_17integral_constantIiLi128EEEEEELb0EEENSF_INS2A_IiLi4EEEEEEEENS5_IJSU_SV_SW_SX_SY_SZ_S10_S11_S12_S13_S14_S15_S16_S17_S18_S19_S1A_NST_IJLi23EEEES1J_NST_IJLi24EEEEEEENS5_IJS1C_S10_S11_S12_S13_S14_S1D_S1E_S1F_S1G_S1H_S17_S18_S1A_S19_S1I_S1J_NST_IJLi26EEEENST_IJLi27ELi28EEEENST_IJLi29EEEEEEENST_IJLi26ELi27ELi28ELi29EEEElEENSB_INS5_IJSR_SP_SP_SR_SG_SG_S2D_S2F_EEENS5_IJSU_SV_SW_SY_SX_SZ_S11_S10_EEENS5_IJS1P_SX_SY_S1Q_S11_S12_NST_IJLi9ELi10EEEES1D_EEENST_IJLi8ELi9ELi10ELi11EEEElEENS5_IJNSB_INS5_IJSK_SP_SP_NSQ_INS5_IJiNS2A_IiLi2EEENS2A_IiLi64EEEEEELb0EEES2Z_EEENS5_IJSU_SV_SW_SX_SY_EEENS5_IJS1P_SX_SY_NST_IJLi5ELi6ELi7EEEENST_IJLi8ELi9ELi10EEEEEEENST_IJLi5ELi6ELi7ELi8ELi9ELi10EEEElEEEEES36_NS_31BlockToCTileMap_M00_N00_M01_N01ILi128ELi128ES1Y_Lb0EEENS1_30ComputePtrOffsetOfStridedBatchILi1ELi1ELi1EvEELb0ELb0EEEvPKT0_S3E_T1_PT2_T3_T4_T5_iT6_T7_T8_T9_T10_T11_.uses_vcc, 1
	.set _ZN2ck16tensor_operation6device12_GLOBAL__N_137kernel_grouped_conv_fwd_dl_multiple_dINS_32GridwiseGemmDlMultipleD_km_kn_mnILi256EaiNS_5TupleIJaEEEaNS0_12element_wise11PassThroughES8_NS7_7AddReluELNS_25InMemoryDataOperationEnumE0ENS_16TensorDescriptorINS5_IJNS_5EmbedINS5_IJiiiiiEEESD_Lb0EEENS_11PassThroughIiEENS_3PadIiiiLb0EEESI_SI_SG_SG_NSC_INS5_IJiiEEESJ_Lb0EEESK_SK_SG_NS_23Merge_v2_magic_divisionINS5_IJiiiiEEEEESN_NS_8RightPadIiiLb0EEESP_NS_7UnMergeISJ_Lb0EEESG_EEENS5_IJNS_8SequenceIJLi0EEEENST_IJLi1EEEENST_IJLi2EEEENST_IJLi3EEEENST_IJLi4EEEENST_IJLi5EEEENST_IJLi6EEEENST_IJLi7EEEENST_IJLi8EEEENST_IJLi9EEEENST_IJLi10EEEENST_IJLi11ELi13ELi15ELi17EEEENST_IJLi12ELi14ELi16ELi18EEEENST_IJLi19EEEENST_IJLi20EEEENST_IJLi22EEEENST_IJLi21EEEEEEENS5_IJNST_IJLi1ELi2ELi3ELi4ELi5EEEES10_S11_S12_S13_S14_NST_IJLi11EEEENST_IJLi12ELi13EEEENST_IJLi14ELi15EEEENST_IJLi16ELi17EEEENST_IJLi18EEEES17_S18_S1A_S19_NST_IJLi23ELi24EEEENST_IJLi25EEEEEEENST_IJLi23ELi25ELi24EEEElEENSB_INS5_IJSR_SP_SP_SR_SG_EEENS5_IJSU_SV_SW_SY_SX_EEENS5_IJNST_IJLi1ELi2EEEESX_SY_NST_IJLi5ELi6EEEES11_EEENST_IJLi5ELi7ELi6EEEElEENSB_INS5_IJSK_SP_SP_EEENS5_IJSU_SV_SW_EEENS5_IJS1P_SX_SY_EEENST_IJLi3ELi4EEEElEELi128ELi128ELi16ELi4ELi4ELi4ELi1ENST_IJLi8ELi2EEEES1Z_NST_IJLi8ELi1ELi1ELi4EEEENST_IJLi2ELi1ELi128ELi1EEEENST_IJLi1ELi2ELi0ELi3EEEES22_NST_IJLi4ELi1ELi1ELi4EEEES22_NST_IJLi1ELi1ELi1ELi4EEEES20_S21_S22_S22_S23_S22_S24_NST_IJLi0ELi1ELi2ELi3ELi4ELi5EEEELi5ELi4EEEaNS5_IJPKaEEEaS8_S8_S9_NSB_INS5_IJSE_SG_SI_SI_SI_SG_SG_SK_SK_SK_SG_SN_SN_SP_SP_SR_SG_SG_NSQ_INS5_IJiNS_17integral_constantIiLi128EEEEEELb0EEENSF_INS2A_IiLi4EEEEEEEENS5_IJSU_SV_SW_SX_SY_SZ_S10_S11_S12_S13_S14_S15_S16_S17_S18_S19_S1A_NST_IJLi23EEEES1J_NST_IJLi24EEEEEEENS5_IJS1C_S10_S11_S12_S13_S14_S1D_S1E_S1F_S1G_S1H_S17_S18_S1A_S19_S1I_S1J_NST_IJLi26EEEENST_IJLi27ELi28EEEENST_IJLi29EEEEEEENST_IJLi26ELi27ELi28ELi29EEEElEENSB_INS5_IJSR_SP_SP_SR_SG_SG_S2D_S2F_EEENS5_IJSU_SV_SW_SY_SX_SZ_S11_S10_EEENS5_IJS1P_SX_SY_S1Q_S11_S12_NST_IJLi9ELi10EEEES1D_EEENST_IJLi8ELi9ELi10ELi11EEEElEENS5_IJNSB_INS5_IJSK_SP_SP_NSQ_INS5_IJiNS2A_IiLi2EEENS2A_IiLi64EEEEEELb0EEES2Z_EEENS5_IJSU_SV_SW_SX_SY_EEENS5_IJS1P_SX_SY_NST_IJLi5ELi6ELi7EEEENST_IJLi8ELi9ELi10EEEEEEENST_IJLi5ELi6ELi7ELi8ELi9ELi10EEEElEEEEES36_NS_31BlockToCTileMap_M00_N00_M01_N01ILi128ELi128ES1Y_Lb0EEENS1_30ComputePtrOffsetOfStridedBatchILi1ELi1ELi1EvEELb0ELb0EEEvPKT0_S3E_T1_PT2_T3_T4_T5_iT6_T7_T8_T9_T10_T11_.uses_flat_scratch, 0
	.set _ZN2ck16tensor_operation6device12_GLOBAL__N_137kernel_grouped_conv_fwd_dl_multiple_dINS_32GridwiseGemmDlMultipleD_km_kn_mnILi256EaiNS_5TupleIJaEEEaNS0_12element_wise11PassThroughES8_NS7_7AddReluELNS_25InMemoryDataOperationEnumE0ENS_16TensorDescriptorINS5_IJNS_5EmbedINS5_IJiiiiiEEESD_Lb0EEENS_11PassThroughIiEENS_3PadIiiiLb0EEESI_SI_SG_SG_NSC_INS5_IJiiEEESJ_Lb0EEESK_SK_SG_NS_23Merge_v2_magic_divisionINS5_IJiiiiEEEEESN_NS_8RightPadIiiLb0EEESP_NS_7UnMergeISJ_Lb0EEESG_EEENS5_IJNS_8SequenceIJLi0EEEENST_IJLi1EEEENST_IJLi2EEEENST_IJLi3EEEENST_IJLi4EEEENST_IJLi5EEEENST_IJLi6EEEENST_IJLi7EEEENST_IJLi8EEEENST_IJLi9EEEENST_IJLi10EEEENST_IJLi11ELi13ELi15ELi17EEEENST_IJLi12ELi14ELi16ELi18EEEENST_IJLi19EEEENST_IJLi20EEEENST_IJLi22EEEENST_IJLi21EEEEEEENS5_IJNST_IJLi1ELi2ELi3ELi4ELi5EEEES10_S11_S12_S13_S14_NST_IJLi11EEEENST_IJLi12ELi13EEEENST_IJLi14ELi15EEEENST_IJLi16ELi17EEEENST_IJLi18EEEES17_S18_S1A_S19_NST_IJLi23ELi24EEEENST_IJLi25EEEEEEENST_IJLi23ELi25ELi24EEEElEENSB_INS5_IJSR_SP_SP_SR_SG_EEENS5_IJSU_SV_SW_SY_SX_EEENS5_IJNST_IJLi1ELi2EEEESX_SY_NST_IJLi5ELi6EEEES11_EEENST_IJLi5ELi7ELi6EEEElEENSB_INS5_IJSK_SP_SP_EEENS5_IJSU_SV_SW_EEENS5_IJS1P_SX_SY_EEENST_IJLi3ELi4EEEElEELi128ELi128ELi16ELi4ELi4ELi4ELi1ENST_IJLi8ELi2EEEES1Z_NST_IJLi8ELi1ELi1ELi4EEEENST_IJLi2ELi1ELi128ELi1EEEENST_IJLi1ELi2ELi0ELi3EEEES22_NST_IJLi4ELi1ELi1ELi4EEEES22_NST_IJLi1ELi1ELi1ELi4EEEES20_S21_S22_S22_S23_S22_S24_NST_IJLi0ELi1ELi2ELi3ELi4ELi5EEEELi5ELi4EEEaNS5_IJPKaEEEaS8_S8_S9_NSB_INS5_IJSE_SG_SI_SI_SI_SG_SG_SK_SK_SK_SG_SN_SN_SP_SP_SR_SG_SG_NSQ_INS5_IJiNS_17integral_constantIiLi128EEEEEELb0EEENSF_INS2A_IiLi4EEEEEEEENS5_IJSU_SV_SW_SX_SY_SZ_S10_S11_S12_S13_S14_S15_S16_S17_S18_S19_S1A_NST_IJLi23EEEES1J_NST_IJLi24EEEEEEENS5_IJS1C_S10_S11_S12_S13_S14_S1D_S1E_S1F_S1G_S1H_S17_S18_S1A_S19_S1I_S1J_NST_IJLi26EEEENST_IJLi27ELi28EEEENST_IJLi29EEEEEEENST_IJLi26ELi27ELi28ELi29EEEElEENSB_INS5_IJSR_SP_SP_SR_SG_SG_S2D_S2F_EEENS5_IJSU_SV_SW_SY_SX_SZ_S11_S10_EEENS5_IJS1P_SX_SY_S1Q_S11_S12_NST_IJLi9ELi10EEEES1D_EEENST_IJLi8ELi9ELi10ELi11EEEElEENS5_IJNSB_INS5_IJSK_SP_SP_NSQ_INS5_IJiNS2A_IiLi2EEENS2A_IiLi64EEEEEELb0EEES2Z_EEENS5_IJSU_SV_SW_SX_SY_EEENS5_IJS1P_SX_SY_NST_IJLi5ELi6ELi7EEEENST_IJLi8ELi9ELi10EEEEEEENST_IJLi5ELi6ELi7ELi8ELi9ELi10EEEElEEEEES36_NS_31BlockToCTileMap_M00_N00_M01_N01ILi128ELi128ES1Y_Lb0EEENS1_30ComputePtrOffsetOfStridedBatchILi1ELi1ELi1EvEELb0ELb0EEEvPKT0_S3E_T1_PT2_T3_T4_T5_iT6_T7_T8_T9_T10_T11_.has_dyn_sized_stack, 0
	.set _ZN2ck16tensor_operation6device12_GLOBAL__N_137kernel_grouped_conv_fwd_dl_multiple_dINS_32GridwiseGemmDlMultipleD_km_kn_mnILi256EaiNS_5TupleIJaEEEaNS0_12element_wise11PassThroughES8_NS7_7AddReluELNS_25InMemoryDataOperationEnumE0ENS_16TensorDescriptorINS5_IJNS_5EmbedINS5_IJiiiiiEEESD_Lb0EEENS_11PassThroughIiEENS_3PadIiiiLb0EEESI_SI_SG_SG_NSC_INS5_IJiiEEESJ_Lb0EEESK_SK_SG_NS_23Merge_v2_magic_divisionINS5_IJiiiiEEEEESN_NS_8RightPadIiiLb0EEESP_NS_7UnMergeISJ_Lb0EEESG_EEENS5_IJNS_8SequenceIJLi0EEEENST_IJLi1EEEENST_IJLi2EEEENST_IJLi3EEEENST_IJLi4EEEENST_IJLi5EEEENST_IJLi6EEEENST_IJLi7EEEENST_IJLi8EEEENST_IJLi9EEEENST_IJLi10EEEENST_IJLi11ELi13ELi15ELi17EEEENST_IJLi12ELi14ELi16ELi18EEEENST_IJLi19EEEENST_IJLi20EEEENST_IJLi22EEEENST_IJLi21EEEEEEENS5_IJNST_IJLi1ELi2ELi3ELi4ELi5EEEES10_S11_S12_S13_S14_NST_IJLi11EEEENST_IJLi12ELi13EEEENST_IJLi14ELi15EEEENST_IJLi16ELi17EEEENST_IJLi18EEEES17_S18_S1A_S19_NST_IJLi23ELi24EEEENST_IJLi25EEEEEEENST_IJLi23ELi25ELi24EEEElEENSB_INS5_IJSR_SP_SP_SR_SG_EEENS5_IJSU_SV_SW_SY_SX_EEENS5_IJNST_IJLi1ELi2EEEESX_SY_NST_IJLi5ELi6EEEES11_EEENST_IJLi5ELi7ELi6EEEElEENSB_INS5_IJSK_SP_SP_EEENS5_IJSU_SV_SW_EEENS5_IJS1P_SX_SY_EEENST_IJLi3ELi4EEEElEELi128ELi128ELi16ELi4ELi4ELi4ELi1ENST_IJLi8ELi2EEEES1Z_NST_IJLi8ELi1ELi1ELi4EEEENST_IJLi2ELi1ELi128ELi1EEEENST_IJLi1ELi2ELi0ELi3EEEES22_NST_IJLi4ELi1ELi1ELi4EEEES22_NST_IJLi1ELi1ELi1ELi4EEEES20_S21_S22_S22_S23_S22_S24_NST_IJLi0ELi1ELi2ELi3ELi4ELi5EEEELi5ELi4EEEaNS5_IJPKaEEEaS8_S8_S9_NSB_INS5_IJSE_SG_SI_SI_SI_SG_SG_SK_SK_SK_SG_SN_SN_SP_SP_SR_SG_SG_NSQ_INS5_IJiNS_17integral_constantIiLi128EEEEEELb0EEENSF_INS2A_IiLi4EEEEEEEENS5_IJSU_SV_SW_SX_SY_SZ_S10_S11_S12_S13_S14_S15_S16_S17_S18_S19_S1A_NST_IJLi23EEEES1J_NST_IJLi24EEEEEEENS5_IJS1C_S10_S11_S12_S13_S14_S1D_S1E_S1F_S1G_S1H_S17_S18_S1A_S19_S1I_S1J_NST_IJLi26EEEENST_IJLi27ELi28EEEENST_IJLi29EEEEEEENST_IJLi26ELi27ELi28ELi29EEEElEENSB_INS5_IJSR_SP_SP_SR_SG_SG_S2D_S2F_EEENS5_IJSU_SV_SW_SY_SX_SZ_S11_S10_EEENS5_IJS1P_SX_SY_S1Q_S11_S12_NST_IJLi9ELi10EEEES1D_EEENST_IJLi8ELi9ELi10ELi11EEEElEENS5_IJNSB_INS5_IJSK_SP_SP_NSQ_INS5_IJiNS2A_IiLi2EEENS2A_IiLi64EEEEEELb0EEES2Z_EEENS5_IJSU_SV_SW_SX_SY_EEENS5_IJS1P_SX_SY_NST_IJLi5ELi6ELi7EEEENST_IJLi8ELi9ELi10EEEEEEENST_IJLi5ELi6ELi7ELi8ELi9ELi10EEEElEEEEES36_NS_31BlockToCTileMap_M00_N00_M01_N01ILi128ELi128ES1Y_Lb0EEENS1_30ComputePtrOffsetOfStridedBatchILi1ELi1ELi1EvEELb0ELb0EEEvPKT0_S3E_T1_PT2_T3_T4_T5_iT6_T7_T8_T9_T10_T11_.has_recursion, 0
	.set _ZN2ck16tensor_operation6device12_GLOBAL__N_137kernel_grouped_conv_fwd_dl_multiple_dINS_32GridwiseGemmDlMultipleD_km_kn_mnILi256EaiNS_5TupleIJaEEEaNS0_12element_wise11PassThroughES8_NS7_7AddReluELNS_25InMemoryDataOperationEnumE0ENS_16TensorDescriptorINS5_IJNS_5EmbedINS5_IJiiiiiEEESD_Lb0EEENS_11PassThroughIiEENS_3PadIiiiLb0EEESI_SI_SG_SG_NSC_INS5_IJiiEEESJ_Lb0EEESK_SK_SG_NS_23Merge_v2_magic_divisionINS5_IJiiiiEEEEESN_NS_8RightPadIiiLb0EEESP_NS_7UnMergeISJ_Lb0EEESG_EEENS5_IJNS_8SequenceIJLi0EEEENST_IJLi1EEEENST_IJLi2EEEENST_IJLi3EEEENST_IJLi4EEEENST_IJLi5EEEENST_IJLi6EEEENST_IJLi7EEEENST_IJLi8EEEENST_IJLi9EEEENST_IJLi10EEEENST_IJLi11ELi13ELi15ELi17EEEENST_IJLi12ELi14ELi16ELi18EEEENST_IJLi19EEEENST_IJLi20EEEENST_IJLi22EEEENST_IJLi21EEEEEEENS5_IJNST_IJLi1ELi2ELi3ELi4ELi5EEEES10_S11_S12_S13_S14_NST_IJLi11EEEENST_IJLi12ELi13EEEENST_IJLi14ELi15EEEENST_IJLi16ELi17EEEENST_IJLi18EEEES17_S18_S1A_S19_NST_IJLi23ELi24EEEENST_IJLi25EEEEEEENST_IJLi23ELi25ELi24EEEElEENSB_INS5_IJSR_SP_SP_SR_SG_EEENS5_IJSU_SV_SW_SY_SX_EEENS5_IJNST_IJLi1ELi2EEEESX_SY_NST_IJLi5ELi6EEEES11_EEENST_IJLi5ELi7ELi6EEEElEENSB_INS5_IJSK_SP_SP_EEENS5_IJSU_SV_SW_EEENS5_IJS1P_SX_SY_EEENST_IJLi3ELi4EEEElEELi128ELi128ELi16ELi4ELi4ELi4ELi1ENST_IJLi8ELi2EEEES1Z_NST_IJLi8ELi1ELi1ELi4EEEENST_IJLi2ELi1ELi128ELi1EEEENST_IJLi1ELi2ELi0ELi3EEEES22_NST_IJLi4ELi1ELi1ELi4EEEES22_NST_IJLi1ELi1ELi1ELi4EEEES20_S21_S22_S22_S23_S22_S24_NST_IJLi0ELi1ELi2ELi3ELi4ELi5EEEELi5ELi4EEEaNS5_IJPKaEEEaS8_S8_S9_NSB_INS5_IJSE_SG_SI_SI_SI_SG_SG_SK_SK_SK_SG_SN_SN_SP_SP_SR_SG_SG_NSQ_INS5_IJiNS_17integral_constantIiLi128EEEEEELb0EEENSF_INS2A_IiLi4EEEEEEEENS5_IJSU_SV_SW_SX_SY_SZ_S10_S11_S12_S13_S14_S15_S16_S17_S18_S19_S1A_NST_IJLi23EEEES1J_NST_IJLi24EEEEEEENS5_IJS1C_S10_S11_S12_S13_S14_S1D_S1E_S1F_S1G_S1H_S17_S18_S1A_S19_S1I_S1J_NST_IJLi26EEEENST_IJLi27ELi28EEEENST_IJLi29EEEEEEENST_IJLi26ELi27ELi28ELi29EEEElEENSB_INS5_IJSR_SP_SP_SR_SG_SG_S2D_S2F_EEENS5_IJSU_SV_SW_SY_SX_SZ_S11_S10_EEENS5_IJS1P_SX_SY_S1Q_S11_S12_NST_IJLi9ELi10EEEES1D_EEENST_IJLi8ELi9ELi10ELi11EEEElEENS5_IJNSB_INS5_IJSK_SP_SP_NSQ_INS5_IJiNS2A_IiLi2EEENS2A_IiLi64EEEEEELb0EEES2Z_EEENS5_IJSU_SV_SW_SX_SY_EEENS5_IJS1P_SX_SY_NST_IJLi5ELi6ELi7EEEENST_IJLi8ELi9ELi10EEEEEEENST_IJLi5ELi6ELi7ELi8ELi9ELi10EEEElEEEEES36_NS_31BlockToCTileMap_M00_N00_M01_N01ILi128ELi128ES1Y_Lb0EEENS1_30ComputePtrOffsetOfStridedBatchILi1ELi1ELi1EvEELb0ELb0EEEvPKT0_S3E_T1_PT2_T3_T4_T5_iT6_T7_T8_T9_T10_T11_.has_indirect_call, 0
	.section	.AMDGPU.csdata,"",@progbits
; Kernel info:
; codeLenInByte = 14752
; TotalNumSgprs: 76
; NumVgprs: 137
; ScratchSize: 0
; MemoryBound: 0
; FloatMode: 240
; IeeeMode: 1
; LDSByteSize: 32768 bytes/workgroup (compile time only)
; SGPRBlocks: 0
; VGPRBlocks: 21
; NumSGPRsForWavesPerEU: 76
; NumVGPRsForWavesPerEU: 169
; Occupancy: 8
; WaveLimiterHint : 0
; COMPUTE_PGM_RSRC2:SCRATCH_EN: 0
; COMPUTE_PGM_RSRC2:USER_SGPR: 2
; COMPUTE_PGM_RSRC2:TRAP_HANDLER: 0
; COMPUTE_PGM_RSRC2:TGID_X_EN: 1
; COMPUTE_PGM_RSRC2:TGID_Y_EN: 0
; COMPUTE_PGM_RSRC2:TGID_Z_EN: 0
; COMPUTE_PGM_RSRC2:TIDIG_COMP_CNT: 0
	.section	.AMDGPU.gpr_maximums,"",@progbits
	.set amdgpu.max_num_vgpr, 0
	.set amdgpu.max_num_agpr, 0
	.set amdgpu.max_num_sgpr, 0
	.section	.AMDGPU.csdata,"",@progbits
	.type	__hip_cuid_8dbf4043f64cdb3f,@object ; @__hip_cuid_8dbf4043f64cdb3f
	.section	.bss,"aw",@nobits
	.globl	__hip_cuid_8dbf4043f64cdb3f
__hip_cuid_8dbf4043f64cdb3f:
	.byte	0                               ; 0x0
	.size	__hip_cuid_8dbf4043f64cdb3f, 1

	.ident	"AMD clang version 22.0.0git (https://github.com/RadeonOpenCompute/llvm-project roc-7.2.4 26084 f58b06dce1f9c15707c5f808fd002e18c2accf7e)"
	.section	".note.GNU-stack","",@progbits
	.addrsig
	.addrsig_sym __hip_cuid_8dbf4043f64cdb3f
	.amdgpu_metadata
---
amdhsa.kernels:
  - .args:           []
    .group_segment_fixed_size: 0
    .kernarg_segment_align: 4
    .kernarg_segment_size: 0
    .language:       OpenCL C
    .language_version:
      - 2
      - 0
    .max_flat_workgroup_size: 1024
    .name:           _ZN2ckL12flush_icacheEv
    .private_segment_fixed_size: 0
    .sgpr_count:     0
    .sgpr_spill_count: 0
    .symbol:         _ZN2ckL12flush_icacheEv.kd
    .uniform_work_group_size: 1
    .uses_dynamic_stack: false
    .vgpr_count:     0
    .vgpr_spill_count: 0
    .wavefront_size: 32
    .workgroup_processor_mode: 1
  - .args:
      - .actual_access:  read_only
        .address_space:  global
        .offset:         0
        .size:           8
        .value_kind:     global_buffer
      - .actual_access:  read_only
        .address_space:  global
        .offset:         8
        .size:           8
        .value_kind:     global_buffer
      - .address_space:  global
        .offset:         16
        .size:           8
        .value_kind:     global_buffer
      - .actual_access:  write_only
        .address_space:  global
        .offset:         24
        .size:           8
        .value_kind:     global_buffer
      - .offset:         32
        .size:           1
        .value_kind:     by_value
      - .offset:         33
        .size:           1
        .value_kind:     by_value
      - .offset:         34
        .size:           1
        .value_kind:     by_value
      - .offset:         36
        .size:           4
        .value_kind:     by_value
      - .offset:         40
        .size:           200
        .value_kind:     by_value
      - .offset:         240
        .size:           96
        .value_kind:     by_value
      - .offset:         336
        .size:           80
        .value_kind:     by_value
      - .offset:         416
        .size:           80
        .value_kind:     by_value
      - .offset:         496
        .size:           112
        .value_kind:     by_value
      - .offset:         608
        .size:           40
        .value_kind:     by_value
      - .offset:         648
        .size:           4
        .value_kind:     hidden_block_count_x
      - .offset:         652
        .size:           4
        .value_kind:     hidden_block_count_y
      - .offset:         656
        .size:           4
        .value_kind:     hidden_block_count_z
      - .offset:         660
        .size:           2
        .value_kind:     hidden_group_size_x
      - .offset:         662
        .size:           2
        .value_kind:     hidden_group_size_y
      - .offset:         664
        .size:           2
        .value_kind:     hidden_group_size_z
      - .offset:         666
        .size:           2
        .value_kind:     hidden_remainder_x
      - .offset:         668
        .size:           2
        .value_kind:     hidden_remainder_y
      - .offset:         670
        .size:           2
        .value_kind:     hidden_remainder_z
      - .offset:         688
        .size:           8
        .value_kind:     hidden_global_offset_x
      - .offset:         696
        .size:           8
        .value_kind:     hidden_global_offset_y
      - .offset:         704
        .size:           8
        .value_kind:     hidden_global_offset_z
      - .offset:         712
        .size:           2
        .value_kind:     hidden_grid_dims
    .group_segment_fixed_size: 32768
    .kernarg_segment_align: 8
    .kernarg_segment_size: 904
    .language:       OpenCL C
    .language_version:
      - 2
      - 0
    .max_flat_workgroup_size: 256
    .name:           _ZN2ck16tensor_operation6device12_GLOBAL__N_137kernel_grouped_conv_fwd_dl_multiple_dINS_32GridwiseGemmDlMultipleD_km_kn_mnILi256EaiNS_5TupleIJaEEEaNS0_12element_wise11PassThroughES8_NS7_7AddReluELNS_25InMemoryDataOperationEnumE0ENS_16TensorDescriptorINS5_IJNS_5EmbedINS5_IJiiiEEESD_Lb0EEENS_11PassThroughIiEENS_3PadIiiiLb0EEESG_SG_NSC_INS5_IJiiEEESJ_Lb0EEESG_NS_23Merge_v2_magic_divisionISJ_EESM_NS_8RightPadIiiLb0EEESO_NS_7UnMergeISJ_Lb0EEESG_EEENS5_IJNS_8SequenceIJLi0EEEENSS_IJLi1EEEENSS_IJLi2EEEENSS_IJLi3EEEENSS_IJLi4EEEENSS_IJLi5EEEENSS_IJLi6EEEENSS_IJLi7ELi9EEEENSS_IJLi8ELi10EEEENSS_IJLi11EEEENSS_IJLi12EEEENSS_IJLi14EEEENSS_IJLi13EEEEEEENS5_IJNSS_IJLi1ELi2ELi3EEEESX_SY_SZ_NSS_IJLi7EEEENSS_IJLi8ELi9EEEENSS_IJLi10EEEES12_S13_S15_S14_NSS_IJLi15ELi16EEEENSS_IJLi17EEEEEEENSS_IJLi15ELi17ELi16EEEElEENSB_INS5_IJSQ_SO_SO_SQ_SG_EEENS5_IJST_SU_SV_SX_SW_EEENS5_IJNSS_IJLi1ELi2EEEESW_SX_NSS_IJLi5ELi6EEEES18_EEENSS_IJLi5ELi7ELi6EEEElEENSB_INS5_IJSK_SO_SO_EEENS5_IJST_SU_SV_EEENS5_IJS1I_SW_SX_EEENSS_IJLi3ELi4EEEElEELi128ELi128ELi16ELi4ELi4ELi4ELi1ENSS_IJLi8ELi2EEEES1S_NSS_IJLi8ELi1ELi1ELi4EEEENSS_IJLi2ELi1ELi128ELi1EEEENSS_IJLi1ELi2ELi0ELi3EEEES1V_NSS_IJLi4ELi1ELi1ELi4EEEES1V_NSS_IJLi1ELi1ELi1ELi4EEEES1T_S1U_S1V_S1V_S1W_S1V_S1X_NSS_IJLi0ELi1ELi2ELi3ELi4ELi5EEEELi5ELi4EEEaNS5_IJPKaEEEaS8_S8_S9_NSB_INS5_IJSE_SG_SI_SG_SG_SK_SG_SM_SM_SO_SO_SQ_SG_SG_NSP_INS5_IJiNS_17integral_constantIiLi128EEEEEELb0EEENSF_INS23_IiLi4EEEEEEEENS5_IJST_SU_SV_SW_SX_SY_SZ_S10_S11_S12_S13_S14_S15_NSS_IJLi15EEEES1C_NSS_IJLi16EEEEEEENS5_IJS17_SX_SY_SZ_S18_S19_S1A_S12_S13_S15_S14_S1B_S1C_NSS_IJLi18EEEENSS_IJLi19ELi20EEEENSS_IJLi21EEEEEEENSS_IJLi18ELi19ELi20ELi21EEEElEENSB_INS5_IJSQ_SO_SO_SQ_SG_SG_S26_S28_EEENS5_IJST_SU_SV_SX_SW_SY_S18_SZ_EEENS5_IJS1I_SW_SX_S1J_S18_NSS_IJLi8EEEENSS_IJLi9ELi10EEEES12_EEENSS_IJLi8ELi9ELi10ELi11EEEElEENS5_IJNSB_INS5_IJSK_SO_SO_NSP_INS5_IJiNS23_IiLi2EEENS23_IiLi64EEEEEELb0EEES2T_EEENS5_IJST_SU_SV_SW_SX_EEENS5_IJS1I_SW_SX_NSS_IJLi5ELi6ELi7EEEENSS_IJLi8ELi9ELi10EEEEEEENSS_IJLi5ELi6ELi7ELi8ELi9ELi10EEEElEEEEES30_NS_31BlockToCTileMap_M00_N00_M01_N01ILi128ELi128ES1R_Lb0EEENS1_30ComputePtrOffsetOfStridedBatchILi1ELi1ELi1EvEELb1ELb1EEEvPKT0_S38_T1_PT2_T3_T4_T5_iT6_T7_T8_T9_T10_T11_
    .private_segment_fixed_size: 0
    .sgpr_count:     67
    .sgpr_spill_count: 0
    .symbol:         _ZN2ck16tensor_operation6device12_GLOBAL__N_137kernel_grouped_conv_fwd_dl_multiple_dINS_32GridwiseGemmDlMultipleD_km_kn_mnILi256EaiNS_5TupleIJaEEEaNS0_12element_wise11PassThroughES8_NS7_7AddReluELNS_25InMemoryDataOperationEnumE0ENS_16TensorDescriptorINS5_IJNS_5EmbedINS5_IJiiiEEESD_Lb0EEENS_11PassThroughIiEENS_3PadIiiiLb0EEESG_SG_NSC_INS5_IJiiEEESJ_Lb0EEESG_NS_23Merge_v2_magic_divisionISJ_EESM_NS_8RightPadIiiLb0EEESO_NS_7UnMergeISJ_Lb0EEESG_EEENS5_IJNS_8SequenceIJLi0EEEENSS_IJLi1EEEENSS_IJLi2EEEENSS_IJLi3EEEENSS_IJLi4EEEENSS_IJLi5EEEENSS_IJLi6EEEENSS_IJLi7ELi9EEEENSS_IJLi8ELi10EEEENSS_IJLi11EEEENSS_IJLi12EEEENSS_IJLi14EEEENSS_IJLi13EEEEEEENS5_IJNSS_IJLi1ELi2ELi3EEEESX_SY_SZ_NSS_IJLi7EEEENSS_IJLi8ELi9EEEENSS_IJLi10EEEES12_S13_S15_S14_NSS_IJLi15ELi16EEEENSS_IJLi17EEEEEEENSS_IJLi15ELi17ELi16EEEElEENSB_INS5_IJSQ_SO_SO_SQ_SG_EEENS5_IJST_SU_SV_SX_SW_EEENS5_IJNSS_IJLi1ELi2EEEESW_SX_NSS_IJLi5ELi6EEEES18_EEENSS_IJLi5ELi7ELi6EEEElEENSB_INS5_IJSK_SO_SO_EEENS5_IJST_SU_SV_EEENS5_IJS1I_SW_SX_EEENSS_IJLi3ELi4EEEElEELi128ELi128ELi16ELi4ELi4ELi4ELi1ENSS_IJLi8ELi2EEEES1S_NSS_IJLi8ELi1ELi1ELi4EEEENSS_IJLi2ELi1ELi128ELi1EEEENSS_IJLi1ELi2ELi0ELi3EEEES1V_NSS_IJLi4ELi1ELi1ELi4EEEES1V_NSS_IJLi1ELi1ELi1ELi4EEEES1T_S1U_S1V_S1V_S1W_S1V_S1X_NSS_IJLi0ELi1ELi2ELi3ELi4ELi5EEEELi5ELi4EEEaNS5_IJPKaEEEaS8_S8_S9_NSB_INS5_IJSE_SG_SI_SG_SG_SK_SG_SM_SM_SO_SO_SQ_SG_SG_NSP_INS5_IJiNS_17integral_constantIiLi128EEEEEELb0EEENSF_INS23_IiLi4EEEEEEEENS5_IJST_SU_SV_SW_SX_SY_SZ_S10_S11_S12_S13_S14_S15_NSS_IJLi15EEEES1C_NSS_IJLi16EEEEEEENS5_IJS17_SX_SY_SZ_S18_S19_S1A_S12_S13_S15_S14_S1B_S1C_NSS_IJLi18EEEENSS_IJLi19ELi20EEEENSS_IJLi21EEEEEEENSS_IJLi18ELi19ELi20ELi21EEEElEENSB_INS5_IJSQ_SO_SO_SQ_SG_SG_S26_S28_EEENS5_IJST_SU_SV_SX_SW_SY_S18_SZ_EEENS5_IJS1I_SW_SX_S1J_S18_NSS_IJLi8EEEENSS_IJLi9ELi10EEEES12_EEENSS_IJLi8ELi9ELi10ELi11EEEElEENS5_IJNSB_INS5_IJSK_SO_SO_NSP_INS5_IJiNS23_IiLi2EEENS23_IiLi64EEEEEELb0EEES2T_EEENS5_IJST_SU_SV_SW_SX_EEENS5_IJS1I_SW_SX_NSS_IJLi5ELi6ELi7EEEENSS_IJLi8ELi9ELi10EEEEEEENSS_IJLi5ELi6ELi7ELi8ELi9ELi10EEEElEEEEES30_NS_31BlockToCTileMap_M00_N00_M01_N01ILi128ELi128ES1R_Lb0EEENS1_30ComputePtrOffsetOfStridedBatchILi1ELi1ELi1EvEELb1ELb1EEEvPKT0_S38_T1_PT2_T3_T4_T5_iT6_T7_T8_T9_T10_T11_.kd
    .uniform_work_group_size: 1
    .uses_dynamic_stack: false
    .vgpr_count:     202
    .vgpr_spill_count: 0
    .wavefront_size: 32
    .workgroup_processor_mode: 1
  - .args:
      - .actual_access:  read_only
        .address_space:  global
        .offset:         0
        .size:           8
        .value_kind:     global_buffer
      - .actual_access:  read_only
        .address_space:  global
        .offset:         8
        .size:           8
        .value_kind:     global_buffer
      - .address_space:  global
        .offset:         16
        .size:           8
        .value_kind:     global_buffer
      - .actual_access:  write_only
        .address_space:  global
        .offset:         24
        .size:           8
        .value_kind:     global_buffer
      - .offset:         32
        .size:           1
        .value_kind:     by_value
      - .offset:         33
        .size:           1
        .value_kind:     by_value
      - .offset:         34
        .size:           1
        .value_kind:     by_value
      - .offset:         36
        .size:           4
        .value_kind:     by_value
      - .offset:         40
        .size:           200
        .value_kind:     by_value
      - .offset:         240
        .size:           96
        .value_kind:     by_value
      - .offset:         336
        .size:           80
        .value_kind:     by_value
      - .offset:         416
        .size:           80
        .value_kind:     by_value
      - .offset:         496
        .size:           112
        .value_kind:     by_value
      - .offset:         608
        .size:           40
        .value_kind:     by_value
      - .offset:         648
        .size:           4
        .value_kind:     hidden_block_count_x
      - .offset:         652
        .size:           4
        .value_kind:     hidden_block_count_y
      - .offset:         656
        .size:           4
        .value_kind:     hidden_block_count_z
      - .offset:         660
        .size:           2
        .value_kind:     hidden_group_size_x
      - .offset:         662
        .size:           2
        .value_kind:     hidden_group_size_y
      - .offset:         664
        .size:           2
        .value_kind:     hidden_group_size_z
      - .offset:         666
        .size:           2
        .value_kind:     hidden_remainder_x
      - .offset:         668
        .size:           2
        .value_kind:     hidden_remainder_y
      - .offset:         670
        .size:           2
        .value_kind:     hidden_remainder_z
      - .offset:         688
        .size:           8
        .value_kind:     hidden_global_offset_x
      - .offset:         696
        .size:           8
        .value_kind:     hidden_global_offset_y
      - .offset:         704
        .size:           8
        .value_kind:     hidden_global_offset_z
      - .offset:         712
        .size:           2
        .value_kind:     hidden_grid_dims
    .group_segment_fixed_size: 32768
    .kernarg_segment_align: 8
    .kernarg_segment_size: 904
    .language:       OpenCL C
    .language_version:
      - 2
      - 0
    .max_flat_workgroup_size: 256
    .name:           _ZN2ck16tensor_operation6device12_GLOBAL__N_137kernel_grouped_conv_fwd_dl_multiple_dINS_32GridwiseGemmDlMultipleD_km_kn_mnILi256EaiNS_5TupleIJaEEEaNS0_12element_wise11PassThroughES8_NS7_7AddReluELNS_25InMemoryDataOperationEnumE0ENS_16TensorDescriptorINS5_IJNS_5EmbedINS5_IJiiiEEESD_Lb0EEENS_11PassThroughIiEENS_3PadIiiiLb0EEESG_SG_NSC_INS5_IJiiEEESJ_Lb0EEESG_NS_23Merge_v2_magic_divisionISJ_EESM_NS_8RightPadIiiLb0EEESO_NS_7UnMergeISJ_Lb0EEESG_EEENS5_IJNS_8SequenceIJLi0EEEENSS_IJLi1EEEENSS_IJLi2EEEENSS_IJLi3EEEENSS_IJLi4EEEENSS_IJLi5EEEENSS_IJLi6EEEENSS_IJLi7ELi9EEEENSS_IJLi8ELi10EEEENSS_IJLi11EEEENSS_IJLi12EEEENSS_IJLi14EEEENSS_IJLi13EEEEEEENS5_IJNSS_IJLi1ELi2ELi3EEEESX_SY_SZ_NSS_IJLi7EEEENSS_IJLi8ELi9EEEENSS_IJLi10EEEES12_S13_S15_S14_NSS_IJLi15ELi16EEEENSS_IJLi17EEEEEEENSS_IJLi15ELi17ELi16EEEElEENSB_INS5_IJSQ_SO_SO_SQ_SG_EEENS5_IJST_SU_SV_SX_SW_EEENS5_IJNSS_IJLi1ELi2EEEESW_SX_NSS_IJLi5ELi6EEEES18_EEENSS_IJLi5ELi7ELi6EEEElEENSB_INS5_IJSK_SO_SO_EEENS5_IJST_SU_SV_EEENS5_IJS1I_SW_SX_EEENSS_IJLi3ELi4EEEElEELi128ELi128ELi16ELi4ELi4ELi4ELi1ENSS_IJLi8ELi2EEEES1S_NSS_IJLi8ELi1ELi1ELi4EEEENSS_IJLi2ELi1ELi128ELi1EEEENSS_IJLi1ELi2ELi0ELi3EEEES1V_NSS_IJLi4ELi1ELi1ELi4EEEES1V_NSS_IJLi1ELi1ELi1ELi4EEEES1T_S1U_S1V_S1V_S1W_S1V_S1X_NSS_IJLi0ELi1ELi2ELi3ELi4ELi5EEEELi5ELi4EEEaNS5_IJPKaEEEaS8_S8_S9_NSB_INS5_IJSE_SG_SI_SG_SG_SK_SG_SM_SM_SO_SO_SQ_SG_SG_NSP_INS5_IJiNS_17integral_constantIiLi128EEEEEELb0EEENSF_INS23_IiLi4EEEEEEEENS5_IJST_SU_SV_SW_SX_SY_SZ_S10_S11_S12_S13_S14_S15_NSS_IJLi15EEEES1C_NSS_IJLi16EEEEEEENS5_IJS17_SX_SY_SZ_S18_S19_S1A_S12_S13_S15_S14_S1B_S1C_NSS_IJLi18EEEENSS_IJLi19ELi20EEEENSS_IJLi21EEEEEEENSS_IJLi18ELi19ELi20ELi21EEEElEENSB_INS5_IJSQ_SO_SO_SQ_SG_SG_S26_S28_EEENS5_IJST_SU_SV_SX_SW_SY_S18_SZ_EEENS5_IJS1I_SW_SX_S1J_S18_NSS_IJLi8EEEENSS_IJLi9ELi10EEEES12_EEENSS_IJLi8ELi9ELi10ELi11EEEElEENS5_IJNSB_INS5_IJSK_SO_SO_NSP_INS5_IJiNS23_IiLi2EEENS23_IiLi64EEEEEELb0EEES2T_EEENS5_IJST_SU_SV_SW_SX_EEENS5_IJS1I_SW_SX_NSS_IJLi5ELi6ELi7EEEENSS_IJLi8ELi9ELi10EEEEEEENSS_IJLi5ELi6ELi7ELi8ELi9ELi10EEEElEEEEES30_NS_31BlockToCTileMap_M00_N00_M01_N01ILi128ELi128ES1R_Lb0EEENS1_30ComputePtrOffsetOfStridedBatchILi1ELi1ELi1EvEELb1ELb0EEEvPKT0_S38_T1_PT2_T3_T4_T5_iT6_T7_T8_T9_T10_T11_
    .private_segment_fixed_size: 0
    .sgpr_count:     63
    .sgpr_spill_count: 0
    .symbol:         _ZN2ck16tensor_operation6device12_GLOBAL__N_137kernel_grouped_conv_fwd_dl_multiple_dINS_32GridwiseGemmDlMultipleD_km_kn_mnILi256EaiNS_5TupleIJaEEEaNS0_12element_wise11PassThroughES8_NS7_7AddReluELNS_25InMemoryDataOperationEnumE0ENS_16TensorDescriptorINS5_IJNS_5EmbedINS5_IJiiiEEESD_Lb0EEENS_11PassThroughIiEENS_3PadIiiiLb0EEESG_SG_NSC_INS5_IJiiEEESJ_Lb0EEESG_NS_23Merge_v2_magic_divisionISJ_EESM_NS_8RightPadIiiLb0EEESO_NS_7UnMergeISJ_Lb0EEESG_EEENS5_IJNS_8SequenceIJLi0EEEENSS_IJLi1EEEENSS_IJLi2EEEENSS_IJLi3EEEENSS_IJLi4EEEENSS_IJLi5EEEENSS_IJLi6EEEENSS_IJLi7ELi9EEEENSS_IJLi8ELi10EEEENSS_IJLi11EEEENSS_IJLi12EEEENSS_IJLi14EEEENSS_IJLi13EEEEEEENS5_IJNSS_IJLi1ELi2ELi3EEEESX_SY_SZ_NSS_IJLi7EEEENSS_IJLi8ELi9EEEENSS_IJLi10EEEES12_S13_S15_S14_NSS_IJLi15ELi16EEEENSS_IJLi17EEEEEEENSS_IJLi15ELi17ELi16EEEElEENSB_INS5_IJSQ_SO_SO_SQ_SG_EEENS5_IJST_SU_SV_SX_SW_EEENS5_IJNSS_IJLi1ELi2EEEESW_SX_NSS_IJLi5ELi6EEEES18_EEENSS_IJLi5ELi7ELi6EEEElEENSB_INS5_IJSK_SO_SO_EEENS5_IJST_SU_SV_EEENS5_IJS1I_SW_SX_EEENSS_IJLi3ELi4EEEElEELi128ELi128ELi16ELi4ELi4ELi4ELi1ENSS_IJLi8ELi2EEEES1S_NSS_IJLi8ELi1ELi1ELi4EEEENSS_IJLi2ELi1ELi128ELi1EEEENSS_IJLi1ELi2ELi0ELi3EEEES1V_NSS_IJLi4ELi1ELi1ELi4EEEES1V_NSS_IJLi1ELi1ELi1ELi4EEEES1T_S1U_S1V_S1V_S1W_S1V_S1X_NSS_IJLi0ELi1ELi2ELi3ELi4ELi5EEEELi5ELi4EEEaNS5_IJPKaEEEaS8_S8_S9_NSB_INS5_IJSE_SG_SI_SG_SG_SK_SG_SM_SM_SO_SO_SQ_SG_SG_NSP_INS5_IJiNS_17integral_constantIiLi128EEEEEELb0EEENSF_INS23_IiLi4EEEEEEEENS5_IJST_SU_SV_SW_SX_SY_SZ_S10_S11_S12_S13_S14_S15_NSS_IJLi15EEEES1C_NSS_IJLi16EEEEEEENS5_IJS17_SX_SY_SZ_S18_S19_S1A_S12_S13_S15_S14_S1B_S1C_NSS_IJLi18EEEENSS_IJLi19ELi20EEEENSS_IJLi21EEEEEEENSS_IJLi18ELi19ELi20ELi21EEEElEENSB_INS5_IJSQ_SO_SO_SQ_SG_SG_S26_S28_EEENS5_IJST_SU_SV_SX_SW_SY_S18_SZ_EEENS5_IJS1I_SW_SX_S1J_S18_NSS_IJLi8EEEENSS_IJLi9ELi10EEEES12_EEENSS_IJLi8ELi9ELi10ELi11EEEElEENS5_IJNSB_INS5_IJSK_SO_SO_NSP_INS5_IJiNS23_IiLi2EEENS23_IiLi64EEEEEELb0EEES2T_EEENS5_IJST_SU_SV_SW_SX_EEENS5_IJS1I_SW_SX_NSS_IJLi5ELi6ELi7EEEENSS_IJLi8ELi9ELi10EEEEEEENSS_IJLi5ELi6ELi7ELi8ELi9ELi10EEEElEEEEES30_NS_31BlockToCTileMap_M00_N00_M01_N01ILi128ELi128ES1R_Lb0EEENS1_30ComputePtrOffsetOfStridedBatchILi1ELi1ELi1EvEELb1ELb0EEEvPKT0_S38_T1_PT2_T3_T4_T5_iT6_T7_T8_T9_T10_T11_.kd
    .uniform_work_group_size: 1
    .uses_dynamic_stack: false
    .vgpr_count:     203
    .vgpr_spill_count: 0
    .wavefront_size: 32
    .workgroup_processor_mode: 1
  - .args:
      - .actual_access:  read_only
        .address_space:  global
        .offset:         0
        .size:           8
        .value_kind:     global_buffer
      - .actual_access:  read_only
        .address_space:  global
        .offset:         8
        .size:           8
        .value_kind:     global_buffer
      - .address_space:  global
        .offset:         16
        .size:           8
        .value_kind:     global_buffer
      - .actual_access:  write_only
        .address_space:  global
        .offset:         24
        .size:           8
        .value_kind:     global_buffer
      - .offset:         32
        .size:           1
        .value_kind:     by_value
      - .offset:         33
        .size:           1
        .value_kind:     by_value
      - .offset:         34
        .size:           1
        .value_kind:     by_value
      - .offset:         36
        .size:           4
        .value_kind:     by_value
      - .offset:         40
        .size:           200
        .value_kind:     by_value
      - .offset:         240
        .size:           96
        .value_kind:     by_value
      - .offset:         336
        .size:           80
        .value_kind:     by_value
      - .offset:         416
        .size:           80
        .value_kind:     by_value
      - .offset:         496
        .size:           112
        .value_kind:     by_value
      - .offset:         608
        .size:           40
        .value_kind:     by_value
      - .offset:         648
        .size:           4
        .value_kind:     hidden_block_count_x
      - .offset:         652
        .size:           4
        .value_kind:     hidden_block_count_y
      - .offset:         656
        .size:           4
        .value_kind:     hidden_block_count_z
      - .offset:         660
        .size:           2
        .value_kind:     hidden_group_size_x
      - .offset:         662
        .size:           2
        .value_kind:     hidden_group_size_y
      - .offset:         664
        .size:           2
        .value_kind:     hidden_group_size_z
      - .offset:         666
        .size:           2
        .value_kind:     hidden_remainder_x
      - .offset:         668
        .size:           2
        .value_kind:     hidden_remainder_y
      - .offset:         670
        .size:           2
        .value_kind:     hidden_remainder_z
      - .offset:         688
        .size:           8
        .value_kind:     hidden_global_offset_x
      - .offset:         696
        .size:           8
        .value_kind:     hidden_global_offset_y
      - .offset:         704
        .size:           8
        .value_kind:     hidden_global_offset_z
      - .offset:         712
        .size:           2
        .value_kind:     hidden_grid_dims
    .group_segment_fixed_size: 32768
    .kernarg_segment_align: 8
    .kernarg_segment_size: 904
    .language:       OpenCL C
    .language_version:
      - 2
      - 0
    .max_flat_workgroup_size: 256
    .name:           _ZN2ck16tensor_operation6device12_GLOBAL__N_137kernel_grouped_conv_fwd_dl_multiple_dINS_32GridwiseGemmDlMultipleD_km_kn_mnILi256EaiNS_5TupleIJaEEEaNS0_12element_wise11PassThroughES8_NS7_7AddReluELNS_25InMemoryDataOperationEnumE0ENS_16TensorDescriptorINS5_IJNS_5EmbedINS5_IJiiiEEESD_Lb0EEENS_11PassThroughIiEENS_3PadIiiiLb0EEESG_SG_NSC_INS5_IJiiEEESJ_Lb0EEESG_NS_23Merge_v2_magic_divisionISJ_EESM_NS_8RightPadIiiLb0EEESO_NS_7UnMergeISJ_Lb0EEESG_EEENS5_IJNS_8SequenceIJLi0EEEENSS_IJLi1EEEENSS_IJLi2EEEENSS_IJLi3EEEENSS_IJLi4EEEENSS_IJLi5EEEENSS_IJLi6EEEENSS_IJLi7ELi9EEEENSS_IJLi8ELi10EEEENSS_IJLi11EEEENSS_IJLi12EEEENSS_IJLi14EEEENSS_IJLi13EEEEEEENS5_IJNSS_IJLi1ELi2ELi3EEEESX_SY_SZ_NSS_IJLi7EEEENSS_IJLi8ELi9EEEENSS_IJLi10EEEES12_S13_S15_S14_NSS_IJLi15ELi16EEEENSS_IJLi17EEEEEEENSS_IJLi15ELi17ELi16EEEElEENSB_INS5_IJSQ_SO_SO_SQ_SG_EEENS5_IJST_SU_SV_SX_SW_EEENS5_IJNSS_IJLi1ELi2EEEESW_SX_NSS_IJLi5ELi6EEEES18_EEENSS_IJLi5ELi7ELi6EEEElEENSB_INS5_IJSK_SO_SO_EEENS5_IJST_SU_SV_EEENS5_IJS1I_SW_SX_EEENSS_IJLi3ELi4EEEElEELi128ELi128ELi16ELi4ELi4ELi4ELi1ENSS_IJLi8ELi2EEEES1S_NSS_IJLi8ELi1ELi1ELi4EEEENSS_IJLi2ELi1ELi128ELi1EEEENSS_IJLi1ELi2ELi0ELi3EEEES1V_NSS_IJLi4ELi1ELi1ELi4EEEES1V_NSS_IJLi1ELi1ELi1ELi4EEEES1T_S1U_S1V_S1V_S1W_S1V_S1X_NSS_IJLi0ELi1ELi2ELi3ELi4ELi5EEEELi5ELi4EEEaNS5_IJPKaEEEaS8_S8_S9_NSB_INS5_IJSE_SG_SI_SG_SG_SK_SG_SM_SM_SO_SO_SQ_SG_SG_NSP_INS5_IJiNS_17integral_constantIiLi128EEEEEELb0EEENSF_INS23_IiLi4EEEEEEEENS5_IJST_SU_SV_SW_SX_SY_SZ_S10_S11_S12_S13_S14_S15_NSS_IJLi15EEEES1C_NSS_IJLi16EEEEEEENS5_IJS17_SX_SY_SZ_S18_S19_S1A_S12_S13_S15_S14_S1B_S1C_NSS_IJLi18EEEENSS_IJLi19ELi20EEEENSS_IJLi21EEEEEEENSS_IJLi18ELi19ELi20ELi21EEEElEENSB_INS5_IJSQ_SO_SO_SQ_SG_SG_S26_S28_EEENS5_IJST_SU_SV_SX_SW_SY_S18_SZ_EEENS5_IJS1I_SW_SX_S1J_S18_NSS_IJLi8EEEENSS_IJLi9ELi10EEEES12_EEENSS_IJLi8ELi9ELi10ELi11EEEElEENS5_IJNSB_INS5_IJSK_SO_SO_NSP_INS5_IJiNS23_IiLi2EEENS23_IiLi64EEEEEELb0EEES2T_EEENS5_IJST_SU_SV_SW_SX_EEENS5_IJS1I_SW_SX_NSS_IJLi5ELi6ELi7EEEENSS_IJLi8ELi9ELi10EEEEEEENSS_IJLi5ELi6ELi7ELi8ELi9ELi10EEEElEEEEES30_NS_31BlockToCTileMap_M00_N00_M01_N01ILi128ELi128ES1R_Lb0EEENS1_30ComputePtrOffsetOfStridedBatchILi1ELi1ELi1EvEELb0ELb1EEEvPKT0_S38_T1_PT2_T3_T4_T5_iT6_T7_T8_T9_T10_T11_
    .private_segment_fixed_size: 0
    .sgpr_count:     63
    .sgpr_spill_count: 0
    .symbol:         _ZN2ck16tensor_operation6device12_GLOBAL__N_137kernel_grouped_conv_fwd_dl_multiple_dINS_32GridwiseGemmDlMultipleD_km_kn_mnILi256EaiNS_5TupleIJaEEEaNS0_12element_wise11PassThroughES8_NS7_7AddReluELNS_25InMemoryDataOperationEnumE0ENS_16TensorDescriptorINS5_IJNS_5EmbedINS5_IJiiiEEESD_Lb0EEENS_11PassThroughIiEENS_3PadIiiiLb0EEESG_SG_NSC_INS5_IJiiEEESJ_Lb0EEESG_NS_23Merge_v2_magic_divisionISJ_EESM_NS_8RightPadIiiLb0EEESO_NS_7UnMergeISJ_Lb0EEESG_EEENS5_IJNS_8SequenceIJLi0EEEENSS_IJLi1EEEENSS_IJLi2EEEENSS_IJLi3EEEENSS_IJLi4EEEENSS_IJLi5EEEENSS_IJLi6EEEENSS_IJLi7ELi9EEEENSS_IJLi8ELi10EEEENSS_IJLi11EEEENSS_IJLi12EEEENSS_IJLi14EEEENSS_IJLi13EEEEEEENS5_IJNSS_IJLi1ELi2ELi3EEEESX_SY_SZ_NSS_IJLi7EEEENSS_IJLi8ELi9EEEENSS_IJLi10EEEES12_S13_S15_S14_NSS_IJLi15ELi16EEEENSS_IJLi17EEEEEEENSS_IJLi15ELi17ELi16EEEElEENSB_INS5_IJSQ_SO_SO_SQ_SG_EEENS5_IJST_SU_SV_SX_SW_EEENS5_IJNSS_IJLi1ELi2EEEESW_SX_NSS_IJLi5ELi6EEEES18_EEENSS_IJLi5ELi7ELi6EEEElEENSB_INS5_IJSK_SO_SO_EEENS5_IJST_SU_SV_EEENS5_IJS1I_SW_SX_EEENSS_IJLi3ELi4EEEElEELi128ELi128ELi16ELi4ELi4ELi4ELi1ENSS_IJLi8ELi2EEEES1S_NSS_IJLi8ELi1ELi1ELi4EEEENSS_IJLi2ELi1ELi128ELi1EEEENSS_IJLi1ELi2ELi0ELi3EEEES1V_NSS_IJLi4ELi1ELi1ELi4EEEES1V_NSS_IJLi1ELi1ELi1ELi4EEEES1T_S1U_S1V_S1V_S1W_S1V_S1X_NSS_IJLi0ELi1ELi2ELi3ELi4ELi5EEEELi5ELi4EEEaNS5_IJPKaEEEaS8_S8_S9_NSB_INS5_IJSE_SG_SI_SG_SG_SK_SG_SM_SM_SO_SO_SQ_SG_SG_NSP_INS5_IJiNS_17integral_constantIiLi128EEEEEELb0EEENSF_INS23_IiLi4EEEEEEEENS5_IJST_SU_SV_SW_SX_SY_SZ_S10_S11_S12_S13_S14_S15_NSS_IJLi15EEEES1C_NSS_IJLi16EEEEEEENS5_IJS17_SX_SY_SZ_S18_S19_S1A_S12_S13_S15_S14_S1B_S1C_NSS_IJLi18EEEENSS_IJLi19ELi20EEEENSS_IJLi21EEEEEEENSS_IJLi18ELi19ELi20ELi21EEEElEENSB_INS5_IJSQ_SO_SO_SQ_SG_SG_S26_S28_EEENS5_IJST_SU_SV_SX_SW_SY_S18_SZ_EEENS5_IJS1I_SW_SX_S1J_S18_NSS_IJLi8EEEENSS_IJLi9ELi10EEEES12_EEENSS_IJLi8ELi9ELi10ELi11EEEElEENS5_IJNSB_INS5_IJSK_SO_SO_NSP_INS5_IJiNS23_IiLi2EEENS23_IiLi64EEEEEELb0EEES2T_EEENS5_IJST_SU_SV_SW_SX_EEENS5_IJS1I_SW_SX_NSS_IJLi5ELi6ELi7EEEENSS_IJLi8ELi9ELi10EEEEEEENSS_IJLi5ELi6ELi7ELi8ELi9ELi10EEEElEEEEES30_NS_31BlockToCTileMap_M00_N00_M01_N01ILi128ELi128ES1R_Lb0EEENS1_30ComputePtrOffsetOfStridedBatchILi1ELi1ELi1EvEELb0ELb1EEEvPKT0_S38_T1_PT2_T3_T4_T5_iT6_T7_T8_T9_T10_T11_.kd
    .uniform_work_group_size: 1
    .uses_dynamic_stack: false
    .vgpr_count:     189
    .vgpr_spill_count: 0
    .wavefront_size: 32
    .workgroup_processor_mode: 1
  - .args:
      - .actual_access:  read_only
        .address_space:  global
        .offset:         0
        .size:           8
        .value_kind:     global_buffer
      - .actual_access:  read_only
        .address_space:  global
        .offset:         8
        .size:           8
        .value_kind:     global_buffer
      - .address_space:  global
        .offset:         16
        .size:           8
        .value_kind:     global_buffer
      - .actual_access:  write_only
        .address_space:  global
        .offset:         24
        .size:           8
        .value_kind:     global_buffer
      - .offset:         32
        .size:           1
        .value_kind:     by_value
      - .offset:         33
        .size:           1
        .value_kind:     by_value
      - .offset:         34
        .size:           1
        .value_kind:     by_value
      - .offset:         36
        .size:           4
        .value_kind:     by_value
      - .offset:         40
        .size:           200
        .value_kind:     by_value
      - .offset:         240
        .size:           96
        .value_kind:     by_value
      - .offset:         336
        .size:           80
        .value_kind:     by_value
      - .offset:         416
        .size:           80
        .value_kind:     by_value
      - .offset:         496
        .size:           112
        .value_kind:     by_value
      - .offset:         608
        .size:           40
        .value_kind:     by_value
      - .offset:         648
        .size:           4
        .value_kind:     hidden_block_count_x
      - .offset:         652
        .size:           4
        .value_kind:     hidden_block_count_y
      - .offset:         656
        .size:           4
        .value_kind:     hidden_block_count_z
      - .offset:         660
        .size:           2
        .value_kind:     hidden_group_size_x
      - .offset:         662
        .size:           2
        .value_kind:     hidden_group_size_y
      - .offset:         664
        .size:           2
        .value_kind:     hidden_group_size_z
      - .offset:         666
        .size:           2
        .value_kind:     hidden_remainder_x
      - .offset:         668
        .size:           2
        .value_kind:     hidden_remainder_y
      - .offset:         670
        .size:           2
        .value_kind:     hidden_remainder_z
      - .offset:         688
        .size:           8
        .value_kind:     hidden_global_offset_x
      - .offset:         696
        .size:           8
        .value_kind:     hidden_global_offset_y
      - .offset:         704
        .size:           8
        .value_kind:     hidden_global_offset_z
      - .offset:         712
        .size:           2
        .value_kind:     hidden_grid_dims
    .group_segment_fixed_size: 32768
    .kernarg_segment_align: 8
    .kernarg_segment_size: 904
    .language:       OpenCL C
    .language_version:
      - 2
      - 0
    .max_flat_workgroup_size: 256
    .name:           _ZN2ck16tensor_operation6device12_GLOBAL__N_137kernel_grouped_conv_fwd_dl_multiple_dINS_32GridwiseGemmDlMultipleD_km_kn_mnILi256EaiNS_5TupleIJaEEEaNS0_12element_wise11PassThroughES8_NS7_7AddReluELNS_25InMemoryDataOperationEnumE0ENS_16TensorDescriptorINS5_IJNS_5EmbedINS5_IJiiiEEESD_Lb0EEENS_11PassThroughIiEENS_3PadIiiiLb0EEESG_SG_NSC_INS5_IJiiEEESJ_Lb0EEESG_NS_23Merge_v2_magic_divisionISJ_EESM_NS_8RightPadIiiLb0EEESO_NS_7UnMergeISJ_Lb0EEESG_EEENS5_IJNS_8SequenceIJLi0EEEENSS_IJLi1EEEENSS_IJLi2EEEENSS_IJLi3EEEENSS_IJLi4EEEENSS_IJLi5EEEENSS_IJLi6EEEENSS_IJLi7ELi9EEEENSS_IJLi8ELi10EEEENSS_IJLi11EEEENSS_IJLi12EEEENSS_IJLi14EEEENSS_IJLi13EEEEEEENS5_IJNSS_IJLi1ELi2ELi3EEEESX_SY_SZ_NSS_IJLi7EEEENSS_IJLi8ELi9EEEENSS_IJLi10EEEES12_S13_S15_S14_NSS_IJLi15ELi16EEEENSS_IJLi17EEEEEEENSS_IJLi15ELi17ELi16EEEElEENSB_INS5_IJSQ_SO_SO_SQ_SG_EEENS5_IJST_SU_SV_SX_SW_EEENS5_IJNSS_IJLi1ELi2EEEESW_SX_NSS_IJLi5ELi6EEEES18_EEENSS_IJLi5ELi7ELi6EEEElEENSB_INS5_IJSK_SO_SO_EEENS5_IJST_SU_SV_EEENS5_IJS1I_SW_SX_EEENSS_IJLi3ELi4EEEElEELi128ELi128ELi16ELi4ELi4ELi4ELi1ENSS_IJLi8ELi2EEEES1S_NSS_IJLi8ELi1ELi1ELi4EEEENSS_IJLi2ELi1ELi128ELi1EEEENSS_IJLi1ELi2ELi0ELi3EEEES1V_NSS_IJLi4ELi1ELi1ELi4EEEES1V_NSS_IJLi1ELi1ELi1ELi4EEEES1T_S1U_S1V_S1V_S1W_S1V_S1X_NSS_IJLi0ELi1ELi2ELi3ELi4ELi5EEEELi5ELi4EEEaNS5_IJPKaEEEaS8_S8_S9_NSB_INS5_IJSE_SG_SI_SG_SG_SK_SG_SM_SM_SO_SO_SQ_SG_SG_NSP_INS5_IJiNS_17integral_constantIiLi128EEEEEELb0EEENSF_INS23_IiLi4EEEEEEEENS5_IJST_SU_SV_SW_SX_SY_SZ_S10_S11_S12_S13_S14_S15_NSS_IJLi15EEEES1C_NSS_IJLi16EEEEEEENS5_IJS17_SX_SY_SZ_S18_S19_S1A_S12_S13_S15_S14_S1B_S1C_NSS_IJLi18EEEENSS_IJLi19ELi20EEEENSS_IJLi21EEEEEEENSS_IJLi18ELi19ELi20ELi21EEEElEENSB_INS5_IJSQ_SO_SO_SQ_SG_SG_S26_S28_EEENS5_IJST_SU_SV_SX_SW_SY_S18_SZ_EEENS5_IJS1I_SW_SX_S1J_S18_NSS_IJLi8EEEENSS_IJLi9ELi10EEEES12_EEENSS_IJLi8ELi9ELi10ELi11EEEElEENS5_IJNSB_INS5_IJSK_SO_SO_NSP_INS5_IJiNS23_IiLi2EEENS23_IiLi64EEEEEELb0EEES2T_EEENS5_IJST_SU_SV_SW_SX_EEENS5_IJS1I_SW_SX_NSS_IJLi5ELi6ELi7EEEENSS_IJLi8ELi9ELi10EEEEEEENSS_IJLi5ELi6ELi7ELi8ELi9ELi10EEEElEEEEES30_NS_31BlockToCTileMap_M00_N00_M01_N01ILi128ELi128ES1R_Lb0EEENS1_30ComputePtrOffsetOfStridedBatchILi1ELi1ELi1EvEELb0ELb0EEEvPKT0_S38_T1_PT2_T3_T4_T5_iT6_T7_T8_T9_T10_T11_
    .private_segment_fixed_size: 0
    .sgpr_count:     55
    .sgpr_spill_count: 0
    .symbol:         _ZN2ck16tensor_operation6device12_GLOBAL__N_137kernel_grouped_conv_fwd_dl_multiple_dINS_32GridwiseGemmDlMultipleD_km_kn_mnILi256EaiNS_5TupleIJaEEEaNS0_12element_wise11PassThroughES8_NS7_7AddReluELNS_25InMemoryDataOperationEnumE0ENS_16TensorDescriptorINS5_IJNS_5EmbedINS5_IJiiiEEESD_Lb0EEENS_11PassThroughIiEENS_3PadIiiiLb0EEESG_SG_NSC_INS5_IJiiEEESJ_Lb0EEESG_NS_23Merge_v2_magic_divisionISJ_EESM_NS_8RightPadIiiLb0EEESO_NS_7UnMergeISJ_Lb0EEESG_EEENS5_IJNS_8SequenceIJLi0EEEENSS_IJLi1EEEENSS_IJLi2EEEENSS_IJLi3EEEENSS_IJLi4EEEENSS_IJLi5EEEENSS_IJLi6EEEENSS_IJLi7ELi9EEEENSS_IJLi8ELi10EEEENSS_IJLi11EEEENSS_IJLi12EEEENSS_IJLi14EEEENSS_IJLi13EEEEEEENS5_IJNSS_IJLi1ELi2ELi3EEEESX_SY_SZ_NSS_IJLi7EEEENSS_IJLi8ELi9EEEENSS_IJLi10EEEES12_S13_S15_S14_NSS_IJLi15ELi16EEEENSS_IJLi17EEEEEEENSS_IJLi15ELi17ELi16EEEElEENSB_INS5_IJSQ_SO_SO_SQ_SG_EEENS5_IJST_SU_SV_SX_SW_EEENS5_IJNSS_IJLi1ELi2EEEESW_SX_NSS_IJLi5ELi6EEEES18_EEENSS_IJLi5ELi7ELi6EEEElEENSB_INS5_IJSK_SO_SO_EEENS5_IJST_SU_SV_EEENS5_IJS1I_SW_SX_EEENSS_IJLi3ELi4EEEElEELi128ELi128ELi16ELi4ELi4ELi4ELi1ENSS_IJLi8ELi2EEEES1S_NSS_IJLi8ELi1ELi1ELi4EEEENSS_IJLi2ELi1ELi128ELi1EEEENSS_IJLi1ELi2ELi0ELi3EEEES1V_NSS_IJLi4ELi1ELi1ELi4EEEES1V_NSS_IJLi1ELi1ELi1ELi4EEEES1T_S1U_S1V_S1V_S1W_S1V_S1X_NSS_IJLi0ELi1ELi2ELi3ELi4ELi5EEEELi5ELi4EEEaNS5_IJPKaEEEaS8_S8_S9_NSB_INS5_IJSE_SG_SI_SG_SG_SK_SG_SM_SM_SO_SO_SQ_SG_SG_NSP_INS5_IJiNS_17integral_constantIiLi128EEEEEELb0EEENSF_INS23_IiLi4EEEEEEEENS5_IJST_SU_SV_SW_SX_SY_SZ_S10_S11_S12_S13_S14_S15_NSS_IJLi15EEEES1C_NSS_IJLi16EEEEEEENS5_IJS17_SX_SY_SZ_S18_S19_S1A_S12_S13_S15_S14_S1B_S1C_NSS_IJLi18EEEENSS_IJLi19ELi20EEEENSS_IJLi21EEEEEEENSS_IJLi18ELi19ELi20ELi21EEEElEENSB_INS5_IJSQ_SO_SO_SQ_SG_SG_S26_S28_EEENS5_IJST_SU_SV_SX_SW_SY_S18_SZ_EEENS5_IJS1I_SW_SX_S1J_S18_NSS_IJLi8EEEENSS_IJLi9ELi10EEEES12_EEENSS_IJLi8ELi9ELi10ELi11EEEElEENS5_IJNSB_INS5_IJSK_SO_SO_NSP_INS5_IJiNS23_IiLi2EEENS23_IiLi64EEEEEELb0EEES2T_EEENS5_IJST_SU_SV_SW_SX_EEENS5_IJS1I_SW_SX_NSS_IJLi5ELi6ELi7EEEENSS_IJLi8ELi9ELi10EEEEEEENSS_IJLi5ELi6ELi7ELi8ELi9ELi10EEEElEEEEES30_NS_31BlockToCTileMap_M00_N00_M01_N01ILi128ELi128ES1R_Lb0EEENS1_30ComputePtrOffsetOfStridedBatchILi1ELi1ELi1EvEELb0ELb0EEEvPKT0_S38_T1_PT2_T3_T4_T5_iT6_T7_T8_T9_T10_T11_.kd
    .uniform_work_group_size: 1
    .uses_dynamic_stack: false
    .vgpr_count:     149
    .vgpr_spill_count: 0
    .wavefront_size: 32
    .workgroup_processor_mode: 1
  - .args:
      - .actual_access:  read_only
        .address_space:  global
        .offset:         0
        .size:           8
        .value_kind:     global_buffer
      - .actual_access:  read_only
        .address_space:  global
        .offset:         8
        .size:           8
        .value_kind:     global_buffer
      - .address_space:  global
        .offset:         16
        .size:           8
        .value_kind:     global_buffer
      - .actual_access:  write_only
        .address_space:  global
        .offset:         24
        .size:           8
        .value_kind:     global_buffer
      - .offset:         32
        .size:           1
        .value_kind:     by_value
      - .offset:         33
        .size:           1
        .value_kind:     by_value
      - .offset:         34
        .size:           1
        .value_kind:     by_value
      - .offset:         36
        .size:           4
        .value_kind:     by_value
      - .offset:         40
        .size:           264
        .value_kind:     by_value
      - .offset:         304
        .size:           96
        .value_kind:     by_value
      - .offset:         400
        .size:           80
        .value_kind:     by_value
      - .offset:         480
        .size:           80
        .value_kind:     by_value
      - .offset:         560
        .size:           112
        .value_kind:     by_value
      - .offset:         672
        .size:           40
        .value_kind:     by_value
      - .offset:         712
        .size:           4
        .value_kind:     hidden_block_count_x
      - .offset:         716
        .size:           4
        .value_kind:     hidden_block_count_y
      - .offset:         720
        .size:           4
        .value_kind:     hidden_block_count_z
      - .offset:         724
        .size:           2
        .value_kind:     hidden_group_size_x
      - .offset:         726
        .size:           2
        .value_kind:     hidden_group_size_y
      - .offset:         728
        .size:           2
        .value_kind:     hidden_group_size_z
      - .offset:         730
        .size:           2
        .value_kind:     hidden_remainder_x
      - .offset:         732
        .size:           2
        .value_kind:     hidden_remainder_y
      - .offset:         734
        .size:           2
        .value_kind:     hidden_remainder_z
      - .offset:         752
        .size:           8
        .value_kind:     hidden_global_offset_x
      - .offset:         760
        .size:           8
        .value_kind:     hidden_global_offset_y
      - .offset:         768
        .size:           8
        .value_kind:     hidden_global_offset_z
      - .offset:         776
        .size:           2
        .value_kind:     hidden_grid_dims
    .group_segment_fixed_size: 32768
    .kernarg_segment_align: 8
    .kernarg_segment_size: 968
    .language:       OpenCL C
    .language_version:
      - 2
      - 0
    .max_flat_workgroup_size: 256
    .name:           _ZN2ck16tensor_operation6device12_GLOBAL__N_137kernel_grouped_conv_fwd_dl_multiple_dINS_32GridwiseGemmDlMultipleD_km_kn_mnILi256EaiNS_5TupleIJaEEEaNS0_12element_wise11PassThroughES8_NS7_7AddReluELNS_25InMemoryDataOperationEnumE0ENS_16TensorDescriptorINS5_IJNS_5EmbedINS5_IJiiiiEEESD_Lb0EEENS_11PassThroughIiEENS_3PadIiiiLb0EEESI_SG_SG_NSC_INS5_IJiiEEESJ_Lb0EEESK_SG_NS_23Merge_v2_magic_divisionINS5_IJiiiEEEEESN_NS_8RightPadIiiLb0EEESP_NS_7UnMergeISJ_Lb0EEESG_EEENS5_IJNS_8SequenceIJLi0EEEENST_IJLi1EEEENST_IJLi2EEEENST_IJLi3EEEENST_IJLi4EEEENST_IJLi5EEEENST_IJLi6EEEENST_IJLi7EEEENST_IJLi8EEEENST_IJLi9ELi11ELi13EEEENST_IJLi10ELi12ELi14EEEENST_IJLi15EEEENST_IJLi16EEEENST_IJLi18EEEENST_IJLi17EEEEEEENS5_IJNST_IJLi1ELi2ELi3ELi4EEEESZ_S10_S11_S12_NST_IJLi9EEEENST_IJLi10ELi11EEEENST_IJLi12ELi13EEEENST_IJLi14EEEES15_S16_S18_S17_NST_IJLi19ELi20EEEENST_IJLi21EEEEEEENST_IJLi19ELi21ELi20EEEElEENSB_INS5_IJSR_SP_SP_SR_SG_EEENS5_IJSU_SV_SW_SY_SX_EEENS5_IJNST_IJLi1ELi2EEEESX_SY_NST_IJLi5ELi6EEEES11_EEENST_IJLi5ELi7ELi6EEEElEENSB_INS5_IJSK_SP_SP_EEENS5_IJSU_SV_SW_EEENS5_IJS1M_SX_SY_EEENST_IJLi3ELi4EEEElEELi128ELi128ELi16ELi4ELi4ELi4ELi1ENST_IJLi8ELi2EEEES1W_NST_IJLi8ELi1ELi1ELi4EEEENST_IJLi2ELi1ELi128ELi1EEEENST_IJLi1ELi2ELi0ELi3EEEES1Z_NST_IJLi4ELi1ELi1ELi4EEEES1Z_NST_IJLi1ELi1ELi1ELi4EEEES1X_S1Y_S1Z_S1Z_S20_S1Z_S21_NST_IJLi0ELi1ELi2ELi3ELi4ELi5EEEELi5ELi4EEEaNS5_IJPKaEEEaS8_S8_S9_NSB_INS5_IJSE_SG_SI_SI_SG_SG_SK_SK_SG_SN_SN_SP_SP_SR_SG_SG_NSQ_INS5_IJiNS_17integral_constantIiLi128EEEEEELb0EEENSF_INS27_IiLi4EEEEEEEENS5_IJSU_SV_SW_SX_SY_SZ_S10_S11_S12_S13_S14_S15_S16_S17_S18_NST_IJLi19EEEES1G_NST_IJLi20EEEEEEENS5_IJS1A_SZ_S10_S11_S12_S1B_S1C_S1D_S1E_S15_S16_S18_S17_S1F_S1G_NST_IJLi22EEEENST_IJLi23ELi24EEEENST_IJLi25EEEEEEENST_IJLi22ELi23ELi24ELi25EEEElEENSB_INS5_IJSR_SP_SP_SR_SG_SG_S2A_S2C_EEENS5_IJSU_SV_SW_SY_SX_SZ_S11_S10_EEENS5_IJS1M_SX_SY_S1N_S11_S12_NST_IJLi9ELi10EEEENST_IJLi11EEEEEEENST_IJLi8ELi9ELi10ELi11EEEElEENS5_IJNSB_INS5_IJSK_SP_SP_NSQ_INS5_IJiNS27_IiLi2EEENS27_IiLi64EEEEEELb0EEES2X_EEENS5_IJSU_SV_SW_SX_SY_EEENS5_IJS1M_SX_SY_NST_IJLi5ELi6ELi7EEEENST_IJLi8ELi9ELi10EEEEEEENST_IJLi5ELi6ELi7ELi8ELi9ELi10EEEElEEEEES34_NS_31BlockToCTileMap_M00_N00_M01_N01ILi128ELi128ES1V_Lb0EEENS1_30ComputePtrOffsetOfStridedBatchILi1ELi1ELi1EvEELb1ELb1EEEvPKT0_S3C_T1_PT2_T3_T4_T5_iT6_T7_T8_T9_T10_T11_
    .private_segment_fixed_size: 0
    .sgpr_count:     78
    .sgpr_spill_count: 0
    .symbol:         _ZN2ck16tensor_operation6device12_GLOBAL__N_137kernel_grouped_conv_fwd_dl_multiple_dINS_32GridwiseGemmDlMultipleD_km_kn_mnILi256EaiNS_5TupleIJaEEEaNS0_12element_wise11PassThroughES8_NS7_7AddReluELNS_25InMemoryDataOperationEnumE0ENS_16TensorDescriptorINS5_IJNS_5EmbedINS5_IJiiiiEEESD_Lb0EEENS_11PassThroughIiEENS_3PadIiiiLb0EEESI_SG_SG_NSC_INS5_IJiiEEESJ_Lb0EEESK_SG_NS_23Merge_v2_magic_divisionINS5_IJiiiEEEEESN_NS_8RightPadIiiLb0EEESP_NS_7UnMergeISJ_Lb0EEESG_EEENS5_IJNS_8SequenceIJLi0EEEENST_IJLi1EEEENST_IJLi2EEEENST_IJLi3EEEENST_IJLi4EEEENST_IJLi5EEEENST_IJLi6EEEENST_IJLi7EEEENST_IJLi8EEEENST_IJLi9ELi11ELi13EEEENST_IJLi10ELi12ELi14EEEENST_IJLi15EEEENST_IJLi16EEEENST_IJLi18EEEENST_IJLi17EEEEEEENS5_IJNST_IJLi1ELi2ELi3ELi4EEEESZ_S10_S11_S12_NST_IJLi9EEEENST_IJLi10ELi11EEEENST_IJLi12ELi13EEEENST_IJLi14EEEES15_S16_S18_S17_NST_IJLi19ELi20EEEENST_IJLi21EEEEEEENST_IJLi19ELi21ELi20EEEElEENSB_INS5_IJSR_SP_SP_SR_SG_EEENS5_IJSU_SV_SW_SY_SX_EEENS5_IJNST_IJLi1ELi2EEEESX_SY_NST_IJLi5ELi6EEEES11_EEENST_IJLi5ELi7ELi6EEEElEENSB_INS5_IJSK_SP_SP_EEENS5_IJSU_SV_SW_EEENS5_IJS1M_SX_SY_EEENST_IJLi3ELi4EEEElEELi128ELi128ELi16ELi4ELi4ELi4ELi1ENST_IJLi8ELi2EEEES1W_NST_IJLi8ELi1ELi1ELi4EEEENST_IJLi2ELi1ELi128ELi1EEEENST_IJLi1ELi2ELi0ELi3EEEES1Z_NST_IJLi4ELi1ELi1ELi4EEEES1Z_NST_IJLi1ELi1ELi1ELi4EEEES1X_S1Y_S1Z_S1Z_S20_S1Z_S21_NST_IJLi0ELi1ELi2ELi3ELi4ELi5EEEELi5ELi4EEEaNS5_IJPKaEEEaS8_S8_S9_NSB_INS5_IJSE_SG_SI_SI_SG_SG_SK_SK_SG_SN_SN_SP_SP_SR_SG_SG_NSQ_INS5_IJiNS_17integral_constantIiLi128EEEEEELb0EEENSF_INS27_IiLi4EEEEEEEENS5_IJSU_SV_SW_SX_SY_SZ_S10_S11_S12_S13_S14_S15_S16_S17_S18_NST_IJLi19EEEES1G_NST_IJLi20EEEEEEENS5_IJS1A_SZ_S10_S11_S12_S1B_S1C_S1D_S1E_S15_S16_S18_S17_S1F_S1G_NST_IJLi22EEEENST_IJLi23ELi24EEEENST_IJLi25EEEEEEENST_IJLi22ELi23ELi24ELi25EEEElEENSB_INS5_IJSR_SP_SP_SR_SG_SG_S2A_S2C_EEENS5_IJSU_SV_SW_SY_SX_SZ_S11_S10_EEENS5_IJS1M_SX_SY_S1N_S11_S12_NST_IJLi9ELi10EEEENST_IJLi11EEEEEEENST_IJLi8ELi9ELi10ELi11EEEElEENS5_IJNSB_INS5_IJSK_SP_SP_NSQ_INS5_IJiNS27_IiLi2EEENS27_IiLi64EEEEEELb0EEES2X_EEENS5_IJSU_SV_SW_SX_SY_EEENS5_IJS1M_SX_SY_NST_IJLi5ELi6ELi7EEEENST_IJLi8ELi9ELi10EEEEEEENST_IJLi5ELi6ELi7ELi8ELi9ELi10EEEElEEEEES34_NS_31BlockToCTileMap_M00_N00_M01_N01ILi128ELi128ES1V_Lb0EEENS1_30ComputePtrOffsetOfStridedBatchILi1ELi1ELi1EvEELb1ELb1EEEvPKT0_S3C_T1_PT2_T3_T4_T5_iT6_T7_T8_T9_T10_T11_.kd
    .uniform_work_group_size: 1
    .uses_dynamic_stack: false
    .vgpr_count:     200
    .vgpr_spill_count: 0
    .wavefront_size: 32
    .workgroup_processor_mode: 1
  - .args:
      - .actual_access:  read_only
        .address_space:  global
        .offset:         0
        .size:           8
        .value_kind:     global_buffer
      - .actual_access:  read_only
        .address_space:  global
        .offset:         8
        .size:           8
        .value_kind:     global_buffer
      - .address_space:  global
        .offset:         16
        .size:           8
        .value_kind:     global_buffer
      - .actual_access:  write_only
        .address_space:  global
        .offset:         24
        .size:           8
        .value_kind:     global_buffer
      - .offset:         32
        .size:           1
        .value_kind:     by_value
      - .offset:         33
        .size:           1
        .value_kind:     by_value
      - .offset:         34
        .size:           1
        .value_kind:     by_value
      - .offset:         36
        .size:           4
        .value_kind:     by_value
      - .offset:         40
        .size:           264
        .value_kind:     by_value
      - .offset:         304
        .size:           96
        .value_kind:     by_value
      - .offset:         400
        .size:           80
        .value_kind:     by_value
      - .offset:         480
        .size:           80
        .value_kind:     by_value
      - .offset:         560
        .size:           112
        .value_kind:     by_value
      - .offset:         672
        .size:           40
        .value_kind:     by_value
      - .offset:         712
        .size:           4
        .value_kind:     hidden_block_count_x
      - .offset:         716
        .size:           4
        .value_kind:     hidden_block_count_y
      - .offset:         720
        .size:           4
        .value_kind:     hidden_block_count_z
      - .offset:         724
        .size:           2
        .value_kind:     hidden_group_size_x
      - .offset:         726
        .size:           2
        .value_kind:     hidden_group_size_y
      - .offset:         728
        .size:           2
        .value_kind:     hidden_group_size_z
      - .offset:         730
        .size:           2
        .value_kind:     hidden_remainder_x
      - .offset:         732
        .size:           2
        .value_kind:     hidden_remainder_y
      - .offset:         734
        .size:           2
        .value_kind:     hidden_remainder_z
      - .offset:         752
        .size:           8
        .value_kind:     hidden_global_offset_x
      - .offset:         760
        .size:           8
        .value_kind:     hidden_global_offset_y
      - .offset:         768
        .size:           8
        .value_kind:     hidden_global_offset_z
      - .offset:         776
        .size:           2
        .value_kind:     hidden_grid_dims
    .group_segment_fixed_size: 32768
    .kernarg_segment_align: 8
    .kernarg_segment_size: 968
    .language:       OpenCL C
    .language_version:
      - 2
      - 0
    .max_flat_workgroup_size: 256
    .name:           _ZN2ck16tensor_operation6device12_GLOBAL__N_137kernel_grouped_conv_fwd_dl_multiple_dINS_32GridwiseGemmDlMultipleD_km_kn_mnILi256EaiNS_5TupleIJaEEEaNS0_12element_wise11PassThroughES8_NS7_7AddReluELNS_25InMemoryDataOperationEnumE0ENS_16TensorDescriptorINS5_IJNS_5EmbedINS5_IJiiiiEEESD_Lb0EEENS_11PassThroughIiEENS_3PadIiiiLb0EEESI_SG_SG_NSC_INS5_IJiiEEESJ_Lb0EEESK_SG_NS_23Merge_v2_magic_divisionINS5_IJiiiEEEEESN_NS_8RightPadIiiLb0EEESP_NS_7UnMergeISJ_Lb0EEESG_EEENS5_IJNS_8SequenceIJLi0EEEENST_IJLi1EEEENST_IJLi2EEEENST_IJLi3EEEENST_IJLi4EEEENST_IJLi5EEEENST_IJLi6EEEENST_IJLi7EEEENST_IJLi8EEEENST_IJLi9ELi11ELi13EEEENST_IJLi10ELi12ELi14EEEENST_IJLi15EEEENST_IJLi16EEEENST_IJLi18EEEENST_IJLi17EEEEEEENS5_IJNST_IJLi1ELi2ELi3ELi4EEEESZ_S10_S11_S12_NST_IJLi9EEEENST_IJLi10ELi11EEEENST_IJLi12ELi13EEEENST_IJLi14EEEES15_S16_S18_S17_NST_IJLi19ELi20EEEENST_IJLi21EEEEEEENST_IJLi19ELi21ELi20EEEElEENSB_INS5_IJSR_SP_SP_SR_SG_EEENS5_IJSU_SV_SW_SY_SX_EEENS5_IJNST_IJLi1ELi2EEEESX_SY_NST_IJLi5ELi6EEEES11_EEENST_IJLi5ELi7ELi6EEEElEENSB_INS5_IJSK_SP_SP_EEENS5_IJSU_SV_SW_EEENS5_IJS1M_SX_SY_EEENST_IJLi3ELi4EEEElEELi128ELi128ELi16ELi4ELi4ELi4ELi1ENST_IJLi8ELi2EEEES1W_NST_IJLi8ELi1ELi1ELi4EEEENST_IJLi2ELi1ELi128ELi1EEEENST_IJLi1ELi2ELi0ELi3EEEES1Z_NST_IJLi4ELi1ELi1ELi4EEEES1Z_NST_IJLi1ELi1ELi1ELi4EEEES1X_S1Y_S1Z_S1Z_S20_S1Z_S21_NST_IJLi0ELi1ELi2ELi3ELi4ELi5EEEELi5ELi4EEEaNS5_IJPKaEEEaS8_S8_S9_NSB_INS5_IJSE_SG_SI_SI_SG_SG_SK_SK_SG_SN_SN_SP_SP_SR_SG_SG_NSQ_INS5_IJiNS_17integral_constantIiLi128EEEEEELb0EEENSF_INS27_IiLi4EEEEEEEENS5_IJSU_SV_SW_SX_SY_SZ_S10_S11_S12_S13_S14_S15_S16_S17_S18_NST_IJLi19EEEES1G_NST_IJLi20EEEEEEENS5_IJS1A_SZ_S10_S11_S12_S1B_S1C_S1D_S1E_S15_S16_S18_S17_S1F_S1G_NST_IJLi22EEEENST_IJLi23ELi24EEEENST_IJLi25EEEEEEENST_IJLi22ELi23ELi24ELi25EEEElEENSB_INS5_IJSR_SP_SP_SR_SG_SG_S2A_S2C_EEENS5_IJSU_SV_SW_SY_SX_SZ_S11_S10_EEENS5_IJS1M_SX_SY_S1N_S11_S12_NST_IJLi9ELi10EEEENST_IJLi11EEEEEEENST_IJLi8ELi9ELi10ELi11EEEElEENS5_IJNSB_INS5_IJSK_SP_SP_NSQ_INS5_IJiNS27_IiLi2EEENS27_IiLi64EEEEEELb0EEES2X_EEENS5_IJSU_SV_SW_SX_SY_EEENS5_IJS1M_SX_SY_NST_IJLi5ELi6ELi7EEEENST_IJLi8ELi9ELi10EEEEEEENST_IJLi5ELi6ELi7ELi8ELi9ELi10EEEElEEEEES34_NS_31BlockToCTileMap_M00_N00_M01_N01ILi128ELi128ES1V_Lb0EEENS1_30ComputePtrOffsetOfStridedBatchILi1ELi1ELi1EvEELb1ELb0EEEvPKT0_S3C_T1_PT2_T3_T4_T5_iT6_T7_T8_T9_T10_T11_
    .private_segment_fixed_size: 0
    .sgpr_count:     74
    .sgpr_spill_count: 0
    .symbol:         _ZN2ck16tensor_operation6device12_GLOBAL__N_137kernel_grouped_conv_fwd_dl_multiple_dINS_32GridwiseGemmDlMultipleD_km_kn_mnILi256EaiNS_5TupleIJaEEEaNS0_12element_wise11PassThroughES8_NS7_7AddReluELNS_25InMemoryDataOperationEnumE0ENS_16TensorDescriptorINS5_IJNS_5EmbedINS5_IJiiiiEEESD_Lb0EEENS_11PassThroughIiEENS_3PadIiiiLb0EEESI_SG_SG_NSC_INS5_IJiiEEESJ_Lb0EEESK_SG_NS_23Merge_v2_magic_divisionINS5_IJiiiEEEEESN_NS_8RightPadIiiLb0EEESP_NS_7UnMergeISJ_Lb0EEESG_EEENS5_IJNS_8SequenceIJLi0EEEENST_IJLi1EEEENST_IJLi2EEEENST_IJLi3EEEENST_IJLi4EEEENST_IJLi5EEEENST_IJLi6EEEENST_IJLi7EEEENST_IJLi8EEEENST_IJLi9ELi11ELi13EEEENST_IJLi10ELi12ELi14EEEENST_IJLi15EEEENST_IJLi16EEEENST_IJLi18EEEENST_IJLi17EEEEEEENS5_IJNST_IJLi1ELi2ELi3ELi4EEEESZ_S10_S11_S12_NST_IJLi9EEEENST_IJLi10ELi11EEEENST_IJLi12ELi13EEEENST_IJLi14EEEES15_S16_S18_S17_NST_IJLi19ELi20EEEENST_IJLi21EEEEEEENST_IJLi19ELi21ELi20EEEElEENSB_INS5_IJSR_SP_SP_SR_SG_EEENS5_IJSU_SV_SW_SY_SX_EEENS5_IJNST_IJLi1ELi2EEEESX_SY_NST_IJLi5ELi6EEEES11_EEENST_IJLi5ELi7ELi6EEEElEENSB_INS5_IJSK_SP_SP_EEENS5_IJSU_SV_SW_EEENS5_IJS1M_SX_SY_EEENST_IJLi3ELi4EEEElEELi128ELi128ELi16ELi4ELi4ELi4ELi1ENST_IJLi8ELi2EEEES1W_NST_IJLi8ELi1ELi1ELi4EEEENST_IJLi2ELi1ELi128ELi1EEEENST_IJLi1ELi2ELi0ELi3EEEES1Z_NST_IJLi4ELi1ELi1ELi4EEEES1Z_NST_IJLi1ELi1ELi1ELi4EEEES1X_S1Y_S1Z_S1Z_S20_S1Z_S21_NST_IJLi0ELi1ELi2ELi3ELi4ELi5EEEELi5ELi4EEEaNS5_IJPKaEEEaS8_S8_S9_NSB_INS5_IJSE_SG_SI_SI_SG_SG_SK_SK_SG_SN_SN_SP_SP_SR_SG_SG_NSQ_INS5_IJiNS_17integral_constantIiLi128EEEEEELb0EEENSF_INS27_IiLi4EEEEEEEENS5_IJSU_SV_SW_SX_SY_SZ_S10_S11_S12_S13_S14_S15_S16_S17_S18_NST_IJLi19EEEES1G_NST_IJLi20EEEEEEENS5_IJS1A_SZ_S10_S11_S12_S1B_S1C_S1D_S1E_S15_S16_S18_S17_S1F_S1G_NST_IJLi22EEEENST_IJLi23ELi24EEEENST_IJLi25EEEEEEENST_IJLi22ELi23ELi24ELi25EEEElEENSB_INS5_IJSR_SP_SP_SR_SG_SG_S2A_S2C_EEENS5_IJSU_SV_SW_SY_SX_SZ_S11_S10_EEENS5_IJS1M_SX_SY_S1N_S11_S12_NST_IJLi9ELi10EEEENST_IJLi11EEEEEEENST_IJLi8ELi9ELi10ELi11EEEElEENS5_IJNSB_INS5_IJSK_SP_SP_NSQ_INS5_IJiNS27_IiLi2EEENS27_IiLi64EEEEEELb0EEES2X_EEENS5_IJSU_SV_SW_SX_SY_EEENS5_IJS1M_SX_SY_NST_IJLi5ELi6ELi7EEEENST_IJLi8ELi9ELi10EEEEEEENST_IJLi5ELi6ELi7ELi8ELi9ELi10EEEElEEEEES34_NS_31BlockToCTileMap_M00_N00_M01_N01ILi128ELi128ES1V_Lb0EEENS1_30ComputePtrOffsetOfStridedBatchILi1ELi1ELi1EvEELb1ELb0EEEvPKT0_S3C_T1_PT2_T3_T4_T5_iT6_T7_T8_T9_T10_T11_.kd
    .uniform_work_group_size: 1
    .uses_dynamic_stack: false
    .vgpr_count:     203
    .vgpr_spill_count: 0
    .wavefront_size: 32
    .workgroup_processor_mode: 1
  - .args:
      - .actual_access:  read_only
        .address_space:  global
        .offset:         0
        .size:           8
        .value_kind:     global_buffer
      - .actual_access:  read_only
        .address_space:  global
        .offset:         8
        .size:           8
        .value_kind:     global_buffer
      - .address_space:  global
        .offset:         16
        .size:           8
        .value_kind:     global_buffer
      - .actual_access:  write_only
        .address_space:  global
        .offset:         24
        .size:           8
        .value_kind:     global_buffer
      - .offset:         32
        .size:           1
        .value_kind:     by_value
      - .offset:         33
        .size:           1
        .value_kind:     by_value
      - .offset:         34
        .size:           1
        .value_kind:     by_value
      - .offset:         36
        .size:           4
        .value_kind:     by_value
      - .offset:         40
        .size:           264
        .value_kind:     by_value
      - .offset:         304
        .size:           96
        .value_kind:     by_value
      - .offset:         400
        .size:           80
        .value_kind:     by_value
      - .offset:         480
        .size:           80
        .value_kind:     by_value
      - .offset:         560
        .size:           112
        .value_kind:     by_value
      - .offset:         672
        .size:           40
        .value_kind:     by_value
      - .offset:         712
        .size:           4
        .value_kind:     hidden_block_count_x
      - .offset:         716
        .size:           4
        .value_kind:     hidden_block_count_y
      - .offset:         720
        .size:           4
        .value_kind:     hidden_block_count_z
      - .offset:         724
        .size:           2
        .value_kind:     hidden_group_size_x
      - .offset:         726
        .size:           2
        .value_kind:     hidden_group_size_y
      - .offset:         728
        .size:           2
        .value_kind:     hidden_group_size_z
      - .offset:         730
        .size:           2
        .value_kind:     hidden_remainder_x
      - .offset:         732
        .size:           2
        .value_kind:     hidden_remainder_y
      - .offset:         734
        .size:           2
        .value_kind:     hidden_remainder_z
      - .offset:         752
        .size:           8
        .value_kind:     hidden_global_offset_x
      - .offset:         760
        .size:           8
        .value_kind:     hidden_global_offset_y
      - .offset:         768
        .size:           8
        .value_kind:     hidden_global_offset_z
      - .offset:         776
        .size:           2
        .value_kind:     hidden_grid_dims
    .group_segment_fixed_size: 32768
    .kernarg_segment_align: 8
    .kernarg_segment_size: 968
    .language:       OpenCL C
    .language_version:
      - 2
      - 0
    .max_flat_workgroup_size: 256
    .name:           _ZN2ck16tensor_operation6device12_GLOBAL__N_137kernel_grouped_conv_fwd_dl_multiple_dINS_32GridwiseGemmDlMultipleD_km_kn_mnILi256EaiNS_5TupleIJaEEEaNS0_12element_wise11PassThroughES8_NS7_7AddReluELNS_25InMemoryDataOperationEnumE0ENS_16TensorDescriptorINS5_IJNS_5EmbedINS5_IJiiiiEEESD_Lb0EEENS_11PassThroughIiEENS_3PadIiiiLb0EEESI_SG_SG_NSC_INS5_IJiiEEESJ_Lb0EEESK_SG_NS_23Merge_v2_magic_divisionINS5_IJiiiEEEEESN_NS_8RightPadIiiLb0EEESP_NS_7UnMergeISJ_Lb0EEESG_EEENS5_IJNS_8SequenceIJLi0EEEENST_IJLi1EEEENST_IJLi2EEEENST_IJLi3EEEENST_IJLi4EEEENST_IJLi5EEEENST_IJLi6EEEENST_IJLi7EEEENST_IJLi8EEEENST_IJLi9ELi11ELi13EEEENST_IJLi10ELi12ELi14EEEENST_IJLi15EEEENST_IJLi16EEEENST_IJLi18EEEENST_IJLi17EEEEEEENS5_IJNST_IJLi1ELi2ELi3ELi4EEEESZ_S10_S11_S12_NST_IJLi9EEEENST_IJLi10ELi11EEEENST_IJLi12ELi13EEEENST_IJLi14EEEES15_S16_S18_S17_NST_IJLi19ELi20EEEENST_IJLi21EEEEEEENST_IJLi19ELi21ELi20EEEElEENSB_INS5_IJSR_SP_SP_SR_SG_EEENS5_IJSU_SV_SW_SY_SX_EEENS5_IJNST_IJLi1ELi2EEEESX_SY_NST_IJLi5ELi6EEEES11_EEENST_IJLi5ELi7ELi6EEEElEENSB_INS5_IJSK_SP_SP_EEENS5_IJSU_SV_SW_EEENS5_IJS1M_SX_SY_EEENST_IJLi3ELi4EEEElEELi128ELi128ELi16ELi4ELi4ELi4ELi1ENST_IJLi8ELi2EEEES1W_NST_IJLi8ELi1ELi1ELi4EEEENST_IJLi2ELi1ELi128ELi1EEEENST_IJLi1ELi2ELi0ELi3EEEES1Z_NST_IJLi4ELi1ELi1ELi4EEEES1Z_NST_IJLi1ELi1ELi1ELi4EEEES1X_S1Y_S1Z_S1Z_S20_S1Z_S21_NST_IJLi0ELi1ELi2ELi3ELi4ELi5EEEELi5ELi4EEEaNS5_IJPKaEEEaS8_S8_S9_NSB_INS5_IJSE_SG_SI_SI_SG_SG_SK_SK_SG_SN_SN_SP_SP_SR_SG_SG_NSQ_INS5_IJiNS_17integral_constantIiLi128EEEEEELb0EEENSF_INS27_IiLi4EEEEEEEENS5_IJSU_SV_SW_SX_SY_SZ_S10_S11_S12_S13_S14_S15_S16_S17_S18_NST_IJLi19EEEES1G_NST_IJLi20EEEEEEENS5_IJS1A_SZ_S10_S11_S12_S1B_S1C_S1D_S1E_S15_S16_S18_S17_S1F_S1G_NST_IJLi22EEEENST_IJLi23ELi24EEEENST_IJLi25EEEEEEENST_IJLi22ELi23ELi24ELi25EEEElEENSB_INS5_IJSR_SP_SP_SR_SG_SG_S2A_S2C_EEENS5_IJSU_SV_SW_SY_SX_SZ_S11_S10_EEENS5_IJS1M_SX_SY_S1N_S11_S12_NST_IJLi9ELi10EEEENST_IJLi11EEEEEEENST_IJLi8ELi9ELi10ELi11EEEElEENS5_IJNSB_INS5_IJSK_SP_SP_NSQ_INS5_IJiNS27_IiLi2EEENS27_IiLi64EEEEEELb0EEES2X_EEENS5_IJSU_SV_SW_SX_SY_EEENS5_IJS1M_SX_SY_NST_IJLi5ELi6ELi7EEEENST_IJLi8ELi9ELi10EEEEEEENST_IJLi5ELi6ELi7ELi8ELi9ELi10EEEElEEEEES34_NS_31BlockToCTileMap_M00_N00_M01_N01ILi128ELi128ES1V_Lb0EEENS1_30ComputePtrOffsetOfStridedBatchILi1ELi1ELi1EvEELb0ELb1EEEvPKT0_S3C_T1_PT2_T3_T4_T5_iT6_T7_T8_T9_T10_T11_
    .private_segment_fixed_size: 0
    .sgpr_count:     73
    .sgpr_spill_count: 0
    .symbol:         _ZN2ck16tensor_operation6device12_GLOBAL__N_137kernel_grouped_conv_fwd_dl_multiple_dINS_32GridwiseGemmDlMultipleD_km_kn_mnILi256EaiNS_5TupleIJaEEEaNS0_12element_wise11PassThroughES8_NS7_7AddReluELNS_25InMemoryDataOperationEnumE0ENS_16TensorDescriptorINS5_IJNS_5EmbedINS5_IJiiiiEEESD_Lb0EEENS_11PassThroughIiEENS_3PadIiiiLb0EEESI_SG_SG_NSC_INS5_IJiiEEESJ_Lb0EEESK_SG_NS_23Merge_v2_magic_divisionINS5_IJiiiEEEEESN_NS_8RightPadIiiLb0EEESP_NS_7UnMergeISJ_Lb0EEESG_EEENS5_IJNS_8SequenceIJLi0EEEENST_IJLi1EEEENST_IJLi2EEEENST_IJLi3EEEENST_IJLi4EEEENST_IJLi5EEEENST_IJLi6EEEENST_IJLi7EEEENST_IJLi8EEEENST_IJLi9ELi11ELi13EEEENST_IJLi10ELi12ELi14EEEENST_IJLi15EEEENST_IJLi16EEEENST_IJLi18EEEENST_IJLi17EEEEEEENS5_IJNST_IJLi1ELi2ELi3ELi4EEEESZ_S10_S11_S12_NST_IJLi9EEEENST_IJLi10ELi11EEEENST_IJLi12ELi13EEEENST_IJLi14EEEES15_S16_S18_S17_NST_IJLi19ELi20EEEENST_IJLi21EEEEEEENST_IJLi19ELi21ELi20EEEElEENSB_INS5_IJSR_SP_SP_SR_SG_EEENS5_IJSU_SV_SW_SY_SX_EEENS5_IJNST_IJLi1ELi2EEEESX_SY_NST_IJLi5ELi6EEEES11_EEENST_IJLi5ELi7ELi6EEEElEENSB_INS5_IJSK_SP_SP_EEENS5_IJSU_SV_SW_EEENS5_IJS1M_SX_SY_EEENST_IJLi3ELi4EEEElEELi128ELi128ELi16ELi4ELi4ELi4ELi1ENST_IJLi8ELi2EEEES1W_NST_IJLi8ELi1ELi1ELi4EEEENST_IJLi2ELi1ELi128ELi1EEEENST_IJLi1ELi2ELi0ELi3EEEES1Z_NST_IJLi4ELi1ELi1ELi4EEEES1Z_NST_IJLi1ELi1ELi1ELi4EEEES1X_S1Y_S1Z_S1Z_S20_S1Z_S21_NST_IJLi0ELi1ELi2ELi3ELi4ELi5EEEELi5ELi4EEEaNS5_IJPKaEEEaS8_S8_S9_NSB_INS5_IJSE_SG_SI_SI_SG_SG_SK_SK_SG_SN_SN_SP_SP_SR_SG_SG_NSQ_INS5_IJiNS_17integral_constantIiLi128EEEEEELb0EEENSF_INS27_IiLi4EEEEEEEENS5_IJSU_SV_SW_SX_SY_SZ_S10_S11_S12_S13_S14_S15_S16_S17_S18_NST_IJLi19EEEES1G_NST_IJLi20EEEEEEENS5_IJS1A_SZ_S10_S11_S12_S1B_S1C_S1D_S1E_S15_S16_S18_S17_S1F_S1G_NST_IJLi22EEEENST_IJLi23ELi24EEEENST_IJLi25EEEEEEENST_IJLi22ELi23ELi24ELi25EEEElEENSB_INS5_IJSR_SP_SP_SR_SG_SG_S2A_S2C_EEENS5_IJSU_SV_SW_SY_SX_SZ_S11_S10_EEENS5_IJS1M_SX_SY_S1N_S11_S12_NST_IJLi9ELi10EEEENST_IJLi11EEEEEEENST_IJLi8ELi9ELi10ELi11EEEElEENS5_IJNSB_INS5_IJSK_SP_SP_NSQ_INS5_IJiNS27_IiLi2EEENS27_IiLi64EEEEEELb0EEES2X_EEENS5_IJSU_SV_SW_SX_SY_EEENS5_IJS1M_SX_SY_NST_IJLi5ELi6ELi7EEEENST_IJLi8ELi9ELi10EEEEEEENST_IJLi5ELi6ELi7ELi8ELi9ELi10EEEElEEEEES34_NS_31BlockToCTileMap_M00_N00_M01_N01ILi128ELi128ES1V_Lb0EEENS1_30ComputePtrOffsetOfStridedBatchILi1ELi1ELi1EvEELb0ELb1EEEvPKT0_S3C_T1_PT2_T3_T4_T5_iT6_T7_T8_T9_T10_T11_.kd
    .uniform_work_group_size: 1
    .uses_dynamic_stack: false
    .vgpr_count:     189
    .vgpr_spill_count: 0
    .wavefront_size: 32
    .workgroup_processor_mode: 1
  - .args:
      - .actual_access:  read_only
        .address_space:  global
        .offset:         0
        .size:           8
        .value_kind:     global_buffer
      - .actual_access:  read_only
        .address_space:  global
        .offset:         8
        .size:           8
        .value_kind:     global_buffer
      - .address_space:  global
        .offset:         16
        .size:           8
        .value_kind:     global_buffer
      - .actual_access:  write_only
        .address_space:  global
        .offset:         24
        .size:           8
        .value_kind:     global_buffer
      - .offset:         32
        .size:           1
        .value_kind:     by_value
      - .offset:         33
        .size:           1
        .value_kind:     by_value
      - .offset:         34
        .size:           1
        .value_kind:     by_value
      - .offset:         36
        .size:           4
        .value_kind:     by_value
      - .offset:         40
        .size:           264
        .value_kind:     by_value
      - .offset:         304
        .size:           96
        .value_kind:     by_value
      - .offset:         400
        .size:           80
        .value_kind:     by_value
      - .offset:         480
        .size:           80
        .value_kind:     by_value
      - .offset:         560
        .size:           112
        .value_kind:     by_value
      - .offset:         672
        .size:           40
        .value_kind:     by_value
      - .offset:         712
        .size:           4
        .value_kind:     hidden_block_count_x
      - .offset:         716
        .size:           4
        .value_kind:     hidden_block_count_y
      - .offset:         720
        .size:           4
        .value_kind:     hidden_block_count_z
      - .offset:         724
        .size:           2
        .value_kind:     hidden_group_size_x
      - .offset:         726
        .size:           2
        .value_kind:     hidden_group_size_y
      - .offset:         728
        .size:           2
        .value_kind:     hidden_group_size_z
      - .offset:         730
        .size:           2
        .value_kind:     hidden_remainder_x
      - .offset:         732
        .size:           2
        .value_kind:     hidden_remainder_y
      - .offset:         734
        .size:           2
        .value_kind:     hidden_remainder_z
      - .offset:         752
        .size:           8
        .value_kind:     hidden_global_offset_x
      - .offset:         760
        .size:           8
        .value_kind:     hidden_global_offset_y
      - .offset:         768
        .size:           8
        .value_kind:     hidden_global_offset_z
      - .offset:         776
        .size:           2
        .value_kind:     hidden_grid_dims
    .group_segment_fixed_size: 32768
    .kernarg_segment_align: 8
    .kernarg_segment_size: 968
    .language:       OpenCL C
    .language_version:
      - 2
      - 0
    .max_flat_workgroup_size: 256
    .name:           _ZN2ck16tensor_operation6device12_GLOBAL__N_137kernel_grouped_conv_fwd_dl_multiple_dINS_32GridwiseGemmDlMultipleD_km_kn_mnILi256EaiNS_5TupleIJaEEEaNS0_12element_wise11PassThroughES8_NS7_7AddReluELNS_25InMemoryDataOperationEnumE0ENS_16TensorDescriptorINS5_IJNS_5EmbedINS5_IJiiiiEEESD_Lb0EEENS_11PassThroughIiEENS_3PadIiiiLb0EEESI_SG_SG_NSC_INS5_IJiiEEESJ_Lb0EEESK_SG_NS_23Merge_v2_magic_divisionINS5_IJiiiEEEEESN_NS_8RightPadIiiLb0EEESP_NS_7UnMergeISJ_Lb0EEESG_EEENS5_IJNS_8SequenceIJLi0EEEENST_IJLi1EEEENST_IJLi2EEEENST_IJLi3EEEENST_IJLi4EEEENST_IJLi5EEEENST_IJLi6EEEENST_IJLi7EEEENST_IJLi8EEEENST_IJLi9ELi11ELi13EEEENST_IJLi10ELi12ELi14EEEENST_IJLi15EEEENST_IJLi16EEEENST_IJLi18EEEENST_IJLi17EEEEEEENS5_IJNST_IJLi1ELi2ELi3ELi4EEEESZ_S10_S11_S12_NST_IJLi9EEEENST_IJLi10ELi11EEEENST_IJLi12ELi13EEEENST_IJLi14EEEES15_S16_S18_S17_NST_IJLi19ELi20EEEENST_IJLi21EEEEEEENST_IJLi19ELi21ELi20EEEElEENSB_INS5_IJSR_SP_SP_SR_SG_EEENS5_IJSU_SV_SW_SY_SX_EEENS5_IJNST_IJLi1ELi2EEEESX_SY_NST_IJLi5ELi6EEEES11_EEENST_IJLi5ELi7ELi6EEEElEENSB_INS5_IJSK_SP_SP_EEENS5_IJSU_SV_SW_EEENS5_IJS1M_SX_SY_EEENST_IJLi3ELi4EEEElEELi128ELi128ELi16ELi4ELi4ELi4ELi1ENST_IJLi8ELi2EEEES1W_NST_IJLi8ELi1ELi1ELi4EEEENST_IJLi2ELi1ELi128ELi1EEEENST_IJLi1ELi2ELi0ELi3EEEES1Z_NST_IJLi4ELi1ELi1ELi4EEEES1Z_NST_IJLi1ELi1ELi1ELi4EEEES1X_S1Y_S1Z_S1Z_S20_S1Z_S21_NST_IJLi0ELi1ELi2ELi3ELi4ELi5EEEELi5ELi4EEEaNS5_IJPKaEEEaS8_S8_S9_NSB_INS5_IJSE_SG_SI_SI_SG_SG_SK_SK_SG_SN_SN_SP_SP_SR_SG_SG_NSQ_INS5_IJiNS_17integral_constantIiLi128EEEEEELb0EEENSF_INS27_IiLi4EEEEEEEENS5_IJSU_SV_SW_SX_SY_SZ_S10_S11_S12_S13_S14_S15_S16_S17_S18_NST_IJLi19EEEES1G_NST_IJLi20EEEEEEENS5_IJS1A_SZ_S10_S11_S12_S1B_S1C_S1D_S1E_S15_S16_S18_S17_S1F_S1G_NST_IJLi22EEEENST_IJLi23ELi24EEEENST_IJLi25EEEEEEENST_IJLi22ELi23ELi24ELi25EEEElEENSB_INS5_IJSR_SP_SP_SR_SG_SG_S2A_S2C_EEENS5_IJSU_SV_SW_SY_SX_SZ_S11_S10_EEENS5_IJS1M_SX_SY_S1N_S11_S12_NST_IJLi9ELi10EEEENST_IJLi11EEEEEEENST_IJLi8ELi9ELi10ELi11EEEElEENS5_IJNSB_INS5_IJSK_SP_SP_NSQ_INS5_IJiNS27_IiLi2EEENS27_IiLi64EEEEEELb0EEES2X_EEENS5_IJSU_SV_SW_SX_SY_EEENS5_IJS1M_SX_SY_NST_IJLi5ELi6ELi7EEEENST_IJLi8ELi9ELi10EEEEEEENST_IJLi5ELi6ELi7ELi8ELi9ELi10EEEElEEEEES34_NS_31BlockToCTileMap_M00_N00_M01_N01ILi128ELi128ES1V_Lb0EEENS1_30ComputePtrOffsetOfStridedBatchILi1ELi1ELi1EvEELb0ELb0EEEvPKT0_S3C_T1_PT2_T3_T4_T5_iT6_T7_T8_T9_T10_T11_
    .private_segment_fixed_size: 0
    .sgpr_count:     69
    .sgpr_spill_count: 0
    .symbol:         _ZN2ck16tensor_operation6device12_GLOBAL__N_137kernel_grouped_conv_fwd_dl_multiple_dINS_32GridwiseGemmDlMultipleD_km_kn_mnILi256EaiNS_5TupleIJaEEEaNS0_12element_wise11PassThroughES8_NS7_7AddReluELNS_25InMemoryDataOperationEnumE0ENS_16TensorDescriptorINS5_IJNS_5EmbedINS5_IJiiiiEEESD_Lb0EEENS_11PassThroughIiEENS_3PadIiiiLb0EEESI_SG_SG_NSC_INS5_IJiiEEESJ_Lb0EEESK_SG_NS_23Merge_v2_magic_divisionINS5_IJiiiEEEEESN_NS_8RightPadIiiLb0EEESP_NS_7UnMergeISJ_Lb0EEESG_EEENS5_IJNS_8SequenceIJLi0EEEENST_IJLi1EEEENST_IJLi2EEEENST_IJLi3EEEENST_IJLi4EEEENST_IJLi5EEEENST_IJLi6EEEENST_IJLi7EEEENST_IJLi8EEEENST_IJLi9ELi11ELi13EEEENST_IJLi10ELi12ELi14EEEENST_IJLi15EEEENST_IJLi16EEEENST_IJLi18EEEENST_IJLi17EEEEEEENS5_IJNST_IJLi1ELi2ELi3ELi4EEEESZ_S10_S11_S12_NST_IJLi9EEEENST_IJLi10ELi11EEEENST_IJLi12ELi13EEEENST_IJLi14EEEES15_S16_S18_S17_NST_IJLi19ELi20EEEENST_IJLi21EEEEEEENST_IJLi19ELi21ELi20EEEElEENSB_INS5_IJSR_SP_SP_SR_SG_EEENS5_IJSU_SV_SW_SY_SX_EEENS5_IJNST_IJLi1ELi2EEEESX_SY_NST_IJLi5ELi6EEEES11_EEENST_IJLi5ELi7ELi6EEEElEENSB_INS5_IJSK_SP_SP_EEENS5_IJSU_SV_SW_EEENS5_IJS1M_SX_SY_EEENST_IJLi3ELi4EEEElEELi128ELi128ELi16ELi4ELi4ELi4ELi1ENST_IJLi8ELi2EEEES1W_NST_IJLi8ELi1ELi1ELi4EEEENST_IJLi2ELi1ELi128ELi1EEEENST_IJLi1ELi2ELi0ELi3EEEES1Z_NST_IJLi4ELi1ELi1ELi4EEEES1Z_NST_IJLi1ELi1ELi1ELi4EEEES1X_S1Y_S1Z_S1Z_S20_S1Z_S21_NST_IJLi0ELi1ELi2ELi3ELi4ELi5EEEELi5ELi4EEEaNS5_IJPKaEEEaS8_S8_S9_NSB_INS5_IJSE_SG_SI_SI_SG_SG_SK_SK_SG_SN_SN_SP_SP_SR_SG_SG_NSQ_INS5_IJiNS_17integral_constantIiLi128EEEEEELb0EEENSF_INS27_IiLi4EEEEEEEENS5_IJSU_SV_SW_SX_SY_SZ_S10_S11_S12_S13_S14_S15_S16_S17_S18_NST_IJLi19EEEES1G_NST_IJLi20EEEEEEENS5_IJS1A_SZ_S10_S11_S12_S1B_S1C_S1D_S1E_S15_S16_S18_S17_S1F_S1G_NST_IJLi22EEEENST_IJLi23ELi24EEEENST_IJLi25EEEEEEENST_IJLi22ELi23ELi24ELi25EEEElEENSB_INS5_IJSR_SP_SP_SR_SG_SG_S2A_S2C_EEENS5_IJSU_SV_SW_SY_SX_SZ_S11_S10_EEENS5_IJS1M_SX_SY_S1N_S11_S12_NST_IJLi9ELi10EEEENST_IJLi11EEEEEEENST_IJLi8ELi9ELi10ELi11EEEElEENS5_IJNSB_INS5_IJSK_SP_SP_NSQ_INS5_IJiNS27_IiLi2EEENS27_IiLi64EEEEEELb0EEES2X_EEENS5_IJSU_SV_SW_SX_SY_EEENS5_IJS1M_SX_SY_NST_IJLi5ELi6ELi7EEEENST_IJLi8ELi9ELi10EEEEEEENST_IJLi5ELi6ELi7ELi8ELi9ELi10EEEElEEEEES34_NS_31BlockToCTileMap_M00_N00_M01_N01ILi128ELi128ES1V_Lb0EEENS1_30ComputePtrOffsetOfStridedBatchILi1ELi1ELi1EvEELb0ELb0EEEvPKT0_S3C_T1_PT2_T3_T4_T5_iT6_T7_T8_T9_T10_T11_.kd
    .uniform_work_group_size: 1
    .uses_dynamic_stack: false
    .vgpr_count:     141
    .vgpr_spill_count: 0
    .wavefront_size: 32
    .workgroup_processor_mode: 1
  - .args:
      - .actual_access:  read_only
        .address_space:  global
        .offset:         0
        .size:           8
        .value_kind:     global_buffer
      - .actual_access:  read_only
        .address_space:  global
        .offset:         8
        .size:           8
        .value_kind:     global_buffer
      - .address_space:  global
        .offset:         16
        .size:           8
        .value_kind:     global_buffer
      - .actual_access:  write_only
        .address_space:  global
        .offset:         24
        .size:           8
        .value_kind:     global_buffer
      - .offset:         32
        .size:           1
        .value_kind:     by_value
      - .offset:         33
        .size:           1
        .value_kind:     by_value
      - .offset:         34
        .size:           1
        .value_kind:     by_value
      - .offset:         36
        .size:           4
        .value_kind:     by_value
      - .offset:         40
        .size:           320
        .value_kind:     by_value
      - .offset:         360
        .size:           96
        .value_kind:     by_value
      - .offset:         456
        .size:           80
        .value_kind:     by_value
      - .offset:         536
        .size:           80
        .value_kind:     by_value
      - .offset:         616
        .size:           112
        .value_kind:     by_value
      - .offset:         728
        .size:           40
        .value_kind:     by_value
      - .offset:         768
        .size:           4
        .value_kind:     hidden_block_count_x
      - .offset:         772
        .size:           4
        .value_kind:     hidden_block_count_y
      - .offset:         776
        .size:           4
        .value_kind:     hidden_block_count_z
      - .offset:         780
        .size:           2
        .value_kind:     hidden_group_size_x
      - .offset:         782
        .size:           2
        .value_kind:     hidden_group_size_y
      - .offset:         784
        .size:           2
        .value_kind:     hidden_group_size_z
      - .offset:         786
        .size:           2
        .value_kind:     hidden_remainder_x
      - .offset:         788
        .size:           2
        .value_kind:     hidden_remainder_y
      - .offset:         790
        .size:           2
        .value_kind:     hidden_remainder_z
      - .offset:         808
        .size:           8
        .value_kind:     hidden_global_offset_x
      - .offset:         816
        .size:           8
        .value_kind:     hidden_global_offset_y
      - .offset:         824
        .size:           8
        .value_kind:     hidden_global_offset_z
      - .offset:         832
        .size:           2
        .value_kind:     hidden_grid_dims
    .group_segment_fixed_size: 32768
    .kernarg_segment_align: 8
    .kernarg_segment_size: 1024
    .language:       OpenCL C
    .language_version:
      - 2
      - 0
    .max_flat_workgroup_size: 256
    .name:           _ZN2ck16tensor_operation6device12_GLOBAL__N_137kernel_grouped_conv_fwd_dl_multiple_dINS_32GridwiseGemmDlMultipleD_km_kn_mnILi256EaiNS_5TupleIJaEEEaNS0_12element_wise11PassThroughES8_NS7_7AddReluELNS_25InMemoryDataOperationEnumE0ENS_16TensorDescriptorINS5_IJNS_5EmbedINS5_IJiiiiiEEESD_Lb0EEENS_11PassThroughIiEENS_3PadIiiiLb0EEESI_SI_SG_SG_NSC_INS5_IJiiEEESJ_Lb0EEESK_SK_SG_NS_23Merge_v2_magic_divisionINS5_IJiiiiEEEEESN_NS_8RightPadIiiLb0EEESP_NS_7UnMergeISJ_Lb0EEESG_EEENS5_IJNS_8SequenceIJLi0EEEENST_IJLi1EEEENST_IJLi2EEEENST_IJLi3EEEENST_IJLi4EEEENST_IJLi5EEEENST_IJLi6EEEENST_IJLi7EEEENST_IJLi8EEEENST_IJLi9EEEENST_IJLi10EEEENST_IJLi11ELi13ELi15ELi17EEEENST_IJLi12ELi14ELi16ELi18EEEENST_IJLi19EEEENST_IJLi20EEEENST_IJLi22EEEENST_IJLi21EEEEEEENS5_IJNST_IJLi1ELi2ELi3ELi4ELi5EEEES10_S11_S12_S13_S14_NST_IJLi11EEEENST_IJLi12ELi13EEEENST_IJLi14ELi15EEEENST_IJLi16ELi17EEEENST_IJLi18EEEES17_S18_S1A_S19_NST_IJLi23ELi24EEEENST_IJLi25EEEEEEENST_IJLi23ELi25ELi24EEEElEENSB_INS5_IJSR_SP_SP_SR_SG_EEENS5_IJSU_SV_SW_SY_SX_EEENS5_IJNST_IJLi1ELi2EEEESX_SY_NST_IJLi5ELi6EEEES11_EEENST_IJLi5ELi7ELi6EEEElEENSB_INS5_IJSK_SP_SP_EEENS5_IJSU_SV_SW_EEENS5_IJS1P_SX_SY_EEENST_IJLi3ELi4EEEElEELi128ELi128ELi16ELi4ELi4ELi4ELi1ENST_IJLi8ELi2EEEES1Z_NST_IJLi8ELi1ELi1ELi4EEEENST_IJLi2ELi1ELi128ELi1EEEENST_IJLi1ELi2ELi0ELi3EEEES22_NST_IJLi4ELi1ELi1ELi4EEEES22_NST_IJLi1ELi1ELi1ELi4EEEES20_S21_S22_S22_S23_S22_S24_NST_IJLi0ELi1ELi2ELi3ELi4ELi5EEEELi5ELi4EEEaNS5_IJPKaEEEaS8_S8_S9_NSB_INS5_IJSE_SG_SI_SI_SI_SG_SG_SK_SK_SK_SG_SN_SN_SP_SP_SR_SG_SG_NSQ_INS5_IJiNS_17integral_constantIiLi128EEEEEELb0EEENSF_INS2A_IiLi4EEEEEEEENS5_IJSU_SV_SW_SX_SY_SZ_S10_S11_S12_S13_S14_S15_S16_S17_S18_S19_S1A_NST_IJLi23EEEES1J_NST_IJLi24EEEEEEENS5_IJS1C_S10_S11_S12_S13_S14_S1D_S1E_S1F_S1G_S1H_S17_S18_S1A_S19_S1I_S1J_NST_IJLi26EEEENST_IJLi27ELi28EEEENST_IJLi29EEEEEEENST_IJLi26ELi27ELi28ELi29EEEElEENSB_INS5_IJSR_SP_SP_SR_SG_SG_S2D_S2F_EEENS5_IJSU_SV_SW_SY_SX_SZ_S11_S10_EEENS5_IJS1P_SX_SY_S1Q_S11_S12_NST_IJLi9ELi10EEEES1D_EEENST_IJLi8ELi9ELi10ELi11EEEElEENS5_IJNSB_INS5_IJSK_SP_SP_NSQ_INS5_IJiNS2A_IiLi2EEENS2A_IiLi64EEEEEELb0EEES2Z_EEENS5_IJSU_SV_SW_SX_SY_EEENS5_IJS1P_SX_SY_NST_IJLi5ELi6ELi7EEEENST_IJLi8ELi9ELi10EEEEEEENST_IJLi5ELi6ELi7ELi8ELi9ELi10EEEElEEEEES36_NS_31BlockToCTileMap_M00_N00_M01_N01ILi128ELi128ES1Y_Lb0EEENS1_30ComputePtrOffsetOfStridedBatchILi1ELi1ELi1EvEELb1ELb1EEEvPKT0_S3E_T1_PT2_T3_T4_T5_iT6_T7_T8_T9_T10_T11_
    .private_segment_fixed_size: 0
    .sgpr_count:     86
    .sgpr_spill_count: 0
    .symbol:         _ZN2ck16tensor_operation6device12_GLOBAL__N_137kernel_grouped_conv_fwd_dl_multiple_dINS_32GridwiseGemmDlMultipleD_km_kn_mnILi256EaiNS_5TupleIJaEEEaNS0_12element_wise11PassThroughES8_NS7_7AddReluELNS_25InMemoryDataOperationEnumE0ENS_16TensorDescriptorINS5_IJNS_5EmbedINS5_IJiiiiiEEESD_Lb0EEENS_11PassThroughIiEENS_3PadIiiiLb0EEESI_SI_SG_SG_NSC_INS5_IJiiEEESJ_Lb0EEESK_SK_SG_NS_23Merge_v2_magic_divisionINS5_IJiiiiEEEEESN_NS_8RightPadIiiLb0EEESP_NS_7UnMergeISJ_Lb0EEESG_EEENS5_IJNS_8SequenceIJLi0EEEENST_IJLi1EEEENST_IJLi2EEEENST_IJLi3EEEENST_IJLi4EEEENST_IJLi5EEEENST_IJLi6EEEENST_IJLi7EEEENST_IJLi8EEEENST_IJLi9EEEENST_IJLi10EEEENST_IJLi11ELi13ELi15ELi17EEEENST_IJLi12ELi14ELi16ELi18EEEENST_IJLi19EEEENST_IJLi20EEEENST_IJLi22EEEENST_IJLi21EEEEEEENS5_IJNST_IJLi1ELi2ELi3ELi4ELi5EEEES10_S11_S12_S13_S14_NST_IJLi11EEEENST_IJLi12ELi13EEEENST_IJLi14ELi15EEEENST_IJLi16ELi17EEEENST_IJLi18EEEES17_S18_S1A_S19_NST_IJLi23ELi24EEEENST_IJLi25EEEEEEENST_IJLi23ELi25ELi24EEEElEENSB_INS5_IJSR_SP_SP_SR_SG_EEENS5_IJSU_SV_SW_SY_SX_EEENS5_IJNST_IJLi1ELi2EEEESX_SY_NST_IJLi5ELi6EEEES11_EEENST_IJLi5ELi7ELi6EEEElEENSB_INS5_IJSK_SP_SP_EEENS5_IJSU_SV_SW_EEENS5_IJS1P_SX_SY_EEENST_IJLi3ELi4EEEElEELi128ELi128ELi16ELi4ELi4ELi4ELi1ENST_IJLi8ELi2EEEES1Z_NST_IJLi8ELi1ELi1ELi4EEEENST_IJLi2ELi1ELi128ELi1EEEENST_IJLi1ELi2ELi0ELi3EEEES22_NST_IJLi4ELi1ELi1ELi4EEEES22_NST_IJLi1ELi1ELi1ELi4EEEES20_S21_S22_S22_S23_S22_S24_NST_IJLi0ELi1ELi2ELi3ELi4ELi5EEEELi5ELi4EEEaNS5_IJPKaEEEaS8_S8_S9_NSB_INS5_IJSE_SG_SI_SI_SI_SG_SG_SK_SK_SK_SG_SN_SN_SP_SP_SR_SG_SG_NSQ_INS5_IJiNS_17integral_constantIiLi128EEEEEELb0EEENSF_INS2A_IiLi4EEEEEEEENS5_IJSU_SV_SW_SX_SY_SZ_S10_S11_S12_S13_S14_S15_S16_S17_S18_S19_S1A_NST_IJLi23EEEES1J_NST_IJLi24EEEEEEENS5_IJS1C_S10_S11_S12_S13_S14_S1D_S1E_S1F_S1G_S1H_S17_S18_S1A_S19_S1I_S1J_NST_IJLi26EEEENST_IJLi27ELi28EEEENST_IJLi29EEEEEEENST_IJLi26ELi27ELi28ELi29EEEElEENSB_INS5_IJSR_SP_SP_SR_SG_SG_S2D_S2F_EEENS5_IJSU_SV_SW_SY_SX_SZ_S11_S10_EEENS5_IJS1P_SX_SY_S1Q_S11_S12_NST_IJLi9ELi10EEEES1D_EEENST_IJLi8ELi9ELi10ELi11EEEElEENS5_IJNSB_INS5_IJSK_SP_SP_NSQ_INS5_IJiNS2A_IiLi2EEENS2A_IiLi64EEEEEELb0EEES2Z_EEENS5_IJSU_SV_SW_SX_SY_EEENS5_IJS1P_SX_SY_NST_IJLi5ELi6ELi7EEEENST_IJLi8ELi9ELi10EEEEEEENST_IJLi5ELi6ELi7ELi8ELi9ELi10EEEElEEEEES36_NS_31BlockToCTileMap_M00_N00_M01_N01ILi128ELi128ES1Y_Lb0EEENS1_30ComputePtrOffsetOfStridedBatchILi1ELi1ELi1EvEELb1ELb1EEEvPKT0_S3E_T1_PT2_T3_T4_T5_iT6_T7_T8_T9_T10_T11_.kd
    .uniform_work_group_size: 1
    .uses_dynamic_stack: false
    .vgpr_count:     202
    .vgpr_spill_count: 0
    .wavefront_size: 32
    .workgroup_processor_mode: 1
  - .args:
      - .actual_access:  read_only
        .address_space:  global
        .offset:         0
        .size:           8
        .value_kind:     global_buffer
      - .actual_access:  read_only
        .address_space:  global
        .offset:         8
        .size:           8
        .value_kind:     global_buffer
      - .address_space:  global
        .offset:         16
        .size:           8
        .value_kind:     global_buffer
      - .actual_access:  write_only
        .address_space:  global
        .offset:         24
        .size:           8
        .value_kind:     global_buffer
      - .offset:         32
        .size:           1
        .value_kind:     by_value
      - .offset:         33
        .size:           1
        .value_kind:     by_value
      - .offset:         34
        .size:           1
        .value_kind:     by_value
      - .offset:         36
        .size:           4
        .value_kind:     by_value
      - .offset:         40
        .size:           320
        .value_kind:     by_value
      - .offset:         360
        .size:           96
        .value_kind:     by_value
      - .offset:         456
        .size:           80
        .value_kind:     by_value
      - .offset:         536
        .size:           80
        .value_kind:     by_value
      - .offset:         616
        .size:           112
        .value_kind:     by_value
      - .offset:         728
        .size:           40
        .value_kind:     by_value
      - .offset:         768
        .size:           4
        .value_kind:     hidden_block_count_x
      - .offset:         772
        .size:           4
        .value_kind:     hidden_block_count_y
      - .offset:         776
        .size:           4
        .value_kind:     hidden_block_count_z
      - .offset:         780
        .size:           2
        .value_kind:     hidden_group_size_x
      - .offset:         782
        .size:           2
        .value_kind:     hidden_group_size_y
      - .offset:         784
        .size:           2
        .value_kind:     hidden_group_size_z
      - .offset:         786
        .size:           2
        .value_kind:     hidden_remainder_x
      - .offset:         788
        .size:           2
        .value_kind:     hidden_remainder_y
      - .offset:         790
        .size:           2
        .value_kind:     hidden_remainder_z
      - .offset:         808
        .size:           8
        .value_kind:     hidden_global_offset_x
      - .offset:         816
        .size:           8
        .value_kind:     hidden_global_offset_y
      - .offset:         824
        .size:           8
        .value_kind:     hidden_global_offset_z
      - .offset:         832
        .size:           2
        .value_kind:     hidden_grid_dims
    .group_segment_fixed_size: 32768
    .kernarg_segment_align: 8
    .kernarg_segment_size: 1024
    .language:       OpenCL C
    .language_version:
      - 2
      - 0
    .max_flat_workgroup_size: 256
    .name:           _ZN2ck16tensor_operation6device12_GLOBAL__N_137kernel_grouped_conv_fwd_dl_multiple_dINS_32GridwiseGemmDlMultipleD_km_kn_mnILi256EaiNS_5TupleIJaEEEaNS0_12element_wise11PassThroughES8_NS7_7AddReluELNS_25InMemoryDataOperationEnumE0ENS_16TensorDescriptorINS5_IJNS_5EmbedINS5_IJiiiiiEEESD_Lb0EEENS_11PassThroughIiEENS_3PadIiiiLb0EEESI_SI_SG_SG_NSC_INS5_IJiiEEESJ_Lb0EEESK_SK_SG_NS_23Merge_v2_magic_divisionINS5_IJiiiiEEEEESN_NS_8RightPadIiiLb0EEESP_NS_7UnMergeISJ_Lb0EEESG_EEENS5_IJNS_8SequenceIJLi0EEEENST_IJLi1EEEENST_IJLi2EEEENST_IJLi3EEEENST_IJLi4EEEENST_IJLi5EEEENST_IJLi6EEEENST_IJLi7EEEENST_IJLi8EEEENST_IJLi9EEEENST_IJLi10EEEENST_IJLi11ELi13ELi15ELi17EEEENST_IJLi12ELi14ELi16ELi18EEEENST_IJLi19EEEENST_IJLi20EEEENST_IJLi22EEEENST_IJLi21EEEEEEENS5_IJNST_IJLi1ELi2ELi3ELi4ELi5EEEES10_S11_S12_S13_S14_NST_IJLi11EEEENST_IJLi12ELi13EEEENST_IJLi14ELi15EEEENST_IJLi16ELi17EEEENST_IJLi18EEEES17_S18_S1A_S19_NST_IJLi23ELi24EEEENST_IJLi25EEEEEEENST_IJLi23ELi25ELi24EEEElEENSB_INS5_IJSR_SP_SP_SR_SG_EEENS5_IJSU_SV_SW_SY_SX_EEENS5_IJNST_IJLi1ELi2EEEESX_SY_NST_IJLi5ELi6EEEES11_EEENST_IJLi5ELi7ELi6EEEElEENSB_INS5_IJSK_SP_SP_EEENS5_IJSU_SV_SW_EEENS5_IJS1P_SX_SY_EEENST_IJLi3ELi4EEEElEELi128ELi128ELi16ELi4ELi4ELi4ELi1ENST_IJLi8ELi2EEEES1Z_NST_IJLi8ELi1ELi1ELi4EEEENST_IJLi2ELi1ELi128ELi1EEEENST_IJLi1ELi2ELi0ELi3EEEES22_NST_IJLi4ELi1ELi1ELi4EEEES22_NST_IJLi1ELi1ELi1ELi4EEEES20_S21_S22_S22_S23_S22_S24_NST_IJLi0ELi1ELi2ELi3ELi4ELi5EEEELi5ELi4EEEaNS5_IJPKaEEEaS8_S8_S9_NSB_INS5_IJSE_SG_SI_SI_SI_SG_SG_SK_SK_SK_SG_SN_SN_SP_SP_SR_SG_SG_NSQ_INS5_IJiNS_17integral_constantIiLi128EEEEEELb0EEENSF_INS2A_IiLi4EEEEEEEENS5_IJSU_SV_SW_SX_SY_SZ_S10_S11_S12_S13_S14_S15_S16_S17_S18_S19_S1A_NST_IJLi23EEEES1J_NST_IJLi24EEEEEEENS5_IJS1C_S10_S11_S12_S13_S14_S1D_S1E_S1F_S1G_S1H_S17_S18_S1A_S19_S1I_S1J_NST_IJLi26EEEENST_IJLi27ELi28EEEENST_IJLi29EEEEEEENST_IJLi26ELi27ELi28ELi29EEEElEENSB_INS5_IJSR_SP_SP_SR_SG_SG_S2D_S2F_EEENS5_IJSU_SV_SW_SY_SX_SZ_S11_S10_EEENS5_IJS1P_SX_SY_S1Q_S11_S12_NST_IJLi9ELi10EEEES1D_EEENST_IJLi8ELi9ELi10ELi11EEEElEENS5_IJNSB_INS5_IJSK_SP_SP_NSQ_INS5_IJiNS2A_IiLi2EEENS2A_IiLi64EEEEEELb0EEES2Z_EEENS5_IJSU_SV_SW_SX_SY_EEENS5_IJS1P_SX_SY_NST_IJLi5ELi6ELi7EEEENST_IJLi8ELi9ELi10EEEEEEENST_IJLi5ELi6ELi7ELi8ELi9ELi10EEEElEEEEES36_NS_31BlockToCTileMap_M00_N00_M01_N01ILi128ELi128ES1Y_Lb0EEENS1_30ComputePtrOffsetOfStridedBatchILi1ELi1ELi1EvEELb1ELb0EEEvPKT0_S3E_T1_PT2_T3_T4_T5_iT6_T7_T8_T9_T10_T11_
    .private_segment_fixed_size: 0
    .sgpr_count:     84
    .sgpr_spill_count: 0
    .symbol:         _ZN2ck16tensor_operation6device12_GLOBAL__N_137kernel_grouped_conv_fwd_dl_multiple_dINS_32GridwiseGemmDlMultipleD_km_kn_mnILi256EaiNS_5TupleIJaEEEaNS0_12element_wise11PassThroughES8_NS7_7AddReluELNS_25InMemoryDataOperationEnumE0ENS_16TensorDescriptorINS5_IJNS_5EmbedINS5_IJiiiiiEEESD_Lb0EEENS_11PassThroughIiEENS_3PadIiiiLb0EEESI_SI_SG_SG_NSC_INS5_IJiiEEESJ_Lb0EEESK_SK_SG_NS_23Merge_v2_magic_divisionINS5_IJiiiiEEEEESN_NS_8RightPadIiiLb0EEESP_NS_7UnMergeISJ_Lb0EEESG_EEENS5_IJNS_8SequenceIJLi0EEEENST_IJLi1EEEENST_IJLi2EEEENST_IJLi3EEEENST_IJLi4EEEENST_IJLi5EEEENST_IJLi6EEEENST_IJLi7EEEENST_IJLi8EEEENST_IJLi9EEEENST_IJLi10EEEENST_IJLi11ELi13ELi15ELi17EEEENST_IJLi12ELi14ELi16ELi18EEEENST_IJLi19EEEENST_IJLi20EEEENST_IJLi22EEEENST_IJLi21EEEEEEENS5_IJNST_IJLi1ELi2ELi3ELi4ELi5EEEES10_S11_S12_S13_S14_NST_IJLi11EEEENST_IJLi12ELi13EEEENST_IJLi14ELi15EEEENST_IJLi16ELi17EEEENST_IJLi18EEEES17_S18_S1A_S19_NST_IJLi23ELi24EEEENST_IJLi25EEEEEEENST_IJLi23ELi25ELi24EEEElEENSB_INS5_IJSR_SP_SP_SR_SG_EEENS5_IJSU_SV_SW_SY_SX_EEENS5_IJNST_IJLi1ELi2EEEESX_SY_NST_IJLi5ELi6EEEES11_EEENST_IJLi5ELi7ELi6EEEElEENSB_INS5_IJSK_SP_SP_EEENS5_IJSU_SV_SW_EEENS5_IJS1P_SX_SY_EEENST_IJLi3ELi4EEEElEELi128ELi128ELi16ELi4ELi4ELi4ELi1ENST_IJLi8ELi2EEEES1Z_NST_IJLi8ELi1ELi1ELi4EEEENST_IJLi2ELi1ELi128ELi1EEEENST_IJLi1ELi2ELi0ELi3EEEES22_NST_IJLi4ELi1ELi1ELi4EEEES22_NST_IJLi1ELi1ELi1ELi4EEEES20_S21_S22_S22_S23_S22_S24_NST_IJLi0ELi1ELi2ELi3ELi4ELi5EEEELi5ELi4EEEaNS5_IJPKaEEEaS8_S8_S9_NSB_INS5_IJSE_SG_SI_SI_SI_SG_SG_SK_SK_SK_SG_SN_SN_SP_SP_SR_SG_SG_NSQ_INS5_IJiNS_17integral_constantIiLi128EEEEEELb0EEENSF_INS2A_IiLi4EEEEEEEENS5_IJSU_SV_SW_SX_SY_SZ_S10_S11_S12_S13_S14_S15_S16_S17_S18_S19_S1A_NST_IJLi23EEEES1J_NST_IJLi24EEEEEEENS5_IJS1C_S10_S11_S12_S13_S14_S1D_S1E_S1F_S1G_S1H_S17_S18_S1A_S19_S1I_S1J_NST_IJLi26EEEENST_IJLi27ELi28EEEENST_IJLi29EEEEEEENST_IJLi26ELi27ELi28ELi29EEEElEENSB_INS5_IJSR_SP_SP_SR_SG_SG_S2D_S2F_EEENS5_IJSU_SV_SW_SY_SX_SZ_S11_S10_EEENS5_IJS1P_SX_SY_S1Q_S11_S12_NST_IJLi9ELi10EEEES1D_EEENST_IJLi8ELi9ELi10ELi11EEEElEENS5_IJNSB_INS5_IJSK_SP_SP_NSQ_INS5_IJiNS2A_IiLi2EEENS2A_IiLi64EEEEEELb0EEES2Z_EEENS5_IJSU_SV_SW_SX_SY_EEENS5_IJS1P_SX_SY_NST_IJLi5ELi6ELi7EEEENST_IJLi8ELi9ELi10EEEEEEENST_IJLi5ELi6ELi7ELi8ELi9ELi10EEEElEEEEES36_NS_31BlockToCTileMap_M00_N00_M01_N01ILi128ELi128ES1Y_Lb0EEENS1_30ComputePtrOffsetOfStridedBatchILi1ELi1ELi1EvEELb1ELb0EEEvPKT0_S3E_T1_PT2_T3_T4_T5_iT6_T7_T8_T9_T10_T11_.kd
    .uniform_work_group_size: 1
    .uses_dynamic_stack: false
    .vgpr_count:     203
    .vgpr_spill_count: 0
    .wavefront_size: 32
    .workgroup_processor_mode: 1
  - .args:
      - .actual_access:  read_only
        .address_space:  global
        .offset:         0
        .size:           8
        .value_kind:     global_buffer
      - .actual_access:  read_only
        .address_space:  global
        .offset:         8
        .size:           8
        .value_kind:     global_buffer
      - .address_space:  global
        .offset:         16
        .size:           8
        .value_kind:     global_buffer
      - .actual_access:  write_only
        .address_space:  global
        .offset:         24
        .size:           8
        .value_kind:     global_buffer
      - .offset:         32
        .size:           1
        .value_kind:     by_value
      - .offset:         33
        .size:           1
        .value_kind:     by_value
      - .offset:         34
        .size:           1
        .value_kind:     by_value
      - .offset:         36
        .size:           4
        .value_kind:     by_value
      - .offset:         40
        .size:           320
        .value_kind:     by_value
      - .offset:         360
        .size:           96
        .value_kind:     by_value
      - .offset:         456
        .size:           80
        .value_kind:     by_value
      - .offset:         536
        .size:           80
        .value_kind:     by_value
      - .offset:         616
        .size:           112
        .value_kind:     by_value
      - .offset:         728
        .size:           40
        .value_kind:     by_value
      - .offset:         768
        .size:           4
        .value_kind:     hidden_block_count_x
      - .offset:         772
        .size:           4
        .value_kind:     hidden_block_count_y
      - .offset:         776
        .size:           4
        .value_kind:     hidden_block_count_z
      - .offset:         780
        .size:           2
        .value_kind:     hidden_group_size_x
      - .offset:         782
        .size:           2
        .value_kind:     hidden_group_size_y
      - .offset:         784
        .size:           2
        .value_kind:     hidden_group_size_z
      - .offset:         786
        .size:           2
        .value_kind:     hidden_remainder_x
      - .offset:         788
        .size:           2
        .value_kind:     hidden_remainder_y
      - .offset:         790
        .size:           2
        .value_kind:     hidden_remainder_z
      - .offset:         808
        .size:           8
        .value_kind:     hidden_global_offset_x
      - .offset:         816
        .size:           8
        .value_kind:     hidden_global_offset_y
      - .offset:         824
        .size:           8
        .value_kind:     hidden_global_offset_z
      - .offset:         832
        .size:           2
        .value_kind:     hidden_grid_dims
    .group_segment_fixed_size: 32768
    .kernarg_segment_align: 8
    .kernarg_segment_size: 1024
    .language:       OpenCL C
    .language_version:
      - 2
      - 0
    .max_flat_workgroup_size: 256
    .name:           _ZN2ck16tensor_operation6device12_GLOBAL__N_137kernel_grouped_conv_fwd_dl_multiple_dINS_32GridwiseGemmDlMultipleD_km_kn_mnILi256EaiNS_5TupleIJaEEEaNS0_12element_wise11PassThroughES8_NS7_7AddReluELNS_25InMemoryDataOperationEnumE0ENS_16TensorDescriptorINS5_IJNS_5EmbedINS5_IJiiiiiEEESD_Lb0EEENS_11PassThroughIiEENS_3PadIiiiLb0EEESI_SI_SG_SG_NSC_INS5_IJiiEEESJ_Lb0EEESK_SK_SG_NS_23Merge_v2_magic_divisionINS5_IJiiiiEEEEESN_NS_8RightPadIiiLb0EEESP_NS_7UnMergeISJ_Lb0EEESG_EEENS5_IJNS_8SequenceIJLi0EEEENST_IJLi1EEEENST_IJLi2EEEENST_IJLi3EEEENST_IJLi4EEEENST_IJLi5EEEENST_IJLi6EEEENST_IJLi7EEEENST_IJLi8EEEENST_IJLi9EEEENST_IJLi10EEEENST_IJLi11ELi13ELi15ELi17EEEENST_IJLi12ELi14ELi16ELi18EEEENST_IJLi19EEEENST_IJLi20EEEENST_IJLi22EEEENST_IJLi21EEEEEEENS5_IJNST_IJLi1ELi2ELi3ELi4ELi5EEEES10_S11_S12_S13_S14_NST_IJLi11EEEENST_IJLi12ELi13EEEENST_IJLi14ELi15EEEENST_IJLi16ELi17EEEENST_IJLi18EEEES17_S18_S1A_S19_NST_IJLi23ELi24EEEENST_IJLi25EEEEEEENST_IJLi23ELi25ELi24EEEElEENSB_INS5_IJSR_SP_SP_SR_SG_EEENS5_IJSU_SV_SW_SY_SX_EEENS5_IJNST_IJLi1ELi2EEEESX_SY_NST_IJLi5ELi6EEEES11_EEENST_IJLi5ELi7ELi6EEEElEENSB_INS5_IJSK_SP_SP_EEENS5_IJSU_SV_SW_EEENS5_IJS1P_SX_SY_EEENST_IJLi3ELi4EEEElEELi128ELi128ELi16ELi4ELi4ELi4ELi1ENST_IJLi8ELi2EEEES1Z_NST_IJLi8ELi1ELi1ELi4EEEENST_IJLi2ELi1ELi128ELi1EEEENST_IJLi1ELi2ELi0ELi3EEEES22_NST_IJLi4ELi1ELi1ELi4EEEES22_NST_IJLi1ELi1ELi1ELi4EEEES20_S21_S22_S22_S23_S22_S24_NST_IJLi0ELi1ELi2ELi3ELi4ELi5EEEELi5ELi4EEEaNS5_IJPKaEEEaS8_S8_S9_NSB_INS5_IJSE_SG_SI_SI_SI_SG_SG_SK_SK_SK_SG_SN_SN_SP_SP_SR_SG_SG_NSQ_INS5_IJiNS_17integral_constantIiLi128EEEEEELb0EEENSF_INS2A_IiLi4EEEEEEEENS5_IJSU_SV_SW_SX_SY_SZ_S10_S11_S12_S13_S14_S15_S16_S17_S18_S19_S1A_NST_IJLi23EEEES1J_NST_IJLi24EEEEEEENS5_IJS1C_S10_S11_S12_S13_S14_S1D_S1E_S1F_S1G_S1H_S17_S18_S1A_S19_S1I_S1J_NST_IJLi26EEEENST_IJLi27ELi28EEEENST_IJLi29EEEEEEENST_IJLi26ELi27ELi28ELi29EEEElEENSB_INS5_IJSR_SP_SP_SR_SG_SG_S2D_S2F_EEENS5_IJSU_SV_SW_SY_SX_SZ_S11_S10_EEENS5_IJS1P_SX_SY_S1Q_S11_S12_NST_IJLi9ELi10EEEES1D_EEENST_IJLi8ELi9ELi10ELi11EEEElEENS5_IJNSB_INS5_IJSK_SP_SP_NSQ_INS5_IJiNS2A_IiLi2EEENS2A_IiLi64EEEEEELb0EEES2Z_EEENS5_IJSU_SV_SW_SX_SY_EEENS5_IJS1P_SX_SY_NST_IJLi5ELi6ELi7EEEENST_IJLi8ELi9ELi10EEEEEEENST_IJLi5ELi6ELi7ELi8ELi9ELi10EEEElEEEEES36_NS_31BlockToCTileMap_M00_N00_M01_N01ILi128ELi128ES1Y_Lb0EEENS1_30ComputePtrOffsetOfStridedBatchILi1ELi1ELi1EvEELb0ELb1EEEvPKT0_S3E_T1_PT2_T3_T4_T5_iT6_T7_T8_T9_T10_T11_
    .private_segment_fixed_size: 0
    .sgpr_count:     84
    .sgpr_spill_count: 0
    .symbol:         _ZN2ck16tensor_operation6device12_GLOBAL__N_137kernel_grouped_conv_fwd_dl_multiple_dINS_32GridwiseGemmDlMultipleD_km_kn_mnILi256EaiNS_5TupleIJaEEEaNS0_12element_wise11PassThroughES8_NS7_7AddReluELNS_25InMemoryDataOperationEnumE0ENS_16TensorDescriptorINS5_IJNS_5EmbedINS5_IJiiiiiEEESD_Lb0EEENS_11PassThroughIiEENS_3PadIiiiLb0EEESI_SI_SG_SG_NSC_INS5_IJiiEEESJ_Lb0EEESK_SK_SG_NS_23Merge_v2_magic_divisionINS5_IJiiiiEEEEESN_NS_8RightPadIiiLb0EEESP_NS_7UnMergeISJ_Lb0EEESG_EEENS5_IJNS_8SequenceIJLi0EEEENST_IJLi1EEEENST_IJLi2EEEENST_IJLi3EEEENST_IJLi4EEEENST_IJLi5EEEENST_IJLi6EEEENST_IJLi7EEEENST_IJLi8EEEENST_IJLi9EEEENST_IJLi10EEEENST_IJLi11ELi13ELi15ELi17EEEENST_IJLi12ELi14ELi16ELi18EEEENST_IJLi19EEEENST_IJLi20EEEENST_IJLi22EEEENST_IJLi21EEEEEEENS5_IJNST_IJLi1ELi2ELi3ELi4ELi5EEEES10_S11_S12_S13_S14_NST_IJLi11EEEENST_IJLi12ELi13EEEENST_IJLi14ELi15EEEENST_IJLi16ELi17EEEENST_IJLi18EEEES17_S18_S1A_S19_NST_IJLi23ELi24EEEENST_IJLi25EEEEEEENST_IJLi23ELi25ELi24EEEElEENSB_INS5_IJSR_SP_SP_SR_SG_EEENS5_IJSU_SV_SW_SY_SX_EEENS5_IJNST_IJLi1ELi2EEEESX_SY_NST_IJLi5ELi6EEEES11_EEENST_IJLi5ELi7ELi6EEEElEENSB_INS5_IJSK_SP_SP_EEENS5_IJSU_SV_SW_EEENS5_IJS1P_SX_SY_EEENST_IJLi3ELi4EEEElEELi128ELi128ELi16ELi4ELi4ELi4ELi1ENST_IJLi8ELi2EEEES1Z_NST_IJLi8ELi1ELi1ELi4EEEENST_IJLi2ELi1ELi128ELi1EEEENST_IJLi1ELi2ELi0ELi3EEEES22_NST_IJLi4ELi1ELi1ELi4EEEES22_NST_IJLi1ELi1ELi1ELi4EEEES20_S21_S22_S22_S23_S22_S24_NST_IJLi0ELi1ELi2ELi3ELi4ELi5EEEELi5ELi4EEEaNS5_IJPKaEEEaS8_S8_S9_NSB_INS5_IJSE_SG_SI_SI_SI_SG_SG_SK_SK_SK_SG_SN_SN_SP_SP_SR_SG_SG_NSQ_INS5_IJiNS_17integral_constantIiLi128EEEEEELb0EEENSF_INS2A_IiLi4EEEEEEEENS5_IJSU_SV_SW_SX_SY_SZ_S10_S11_S12_S13_S14_S15_S16_S17_S18_S19_S1A_NST_IJLi23EEEES1J_NST_IJLi24EEEEEEENS5_IJS1C_S10_S11_S12_S13_S14_S1D_S1E_S1F_S1G_S1H_S17_S18_S1A_S19_S1I_S1J_NST_IJLi26EEEENST_IJLi27ELi28EEEENST_IJLi29EEEEEEENST_IJLi26ELi27ELi28ELi29EEEElEENSB_INS5_IJSR_SP_SP_SR_SG_SG_S2D_S2F_EEENS5_IJSU_SV_SW_SY_SX_SZ_S11_S10_EEENS5_IJS1P_SX_SY_S1Q_S11_S12_NST_IJLi9ELi10EEEES1D_EEENST_IJLi8ELi9ELi10ELi11EEEElEENS5_IJNSB_INS5_IJSK_SP_SP_NSQ_INS5_IJiNS2A_IiLi2EEENS2A_IiLi64EEEEEELb0EEES2Z_EEENS5_IJSU_SV_SW_SX_SY_EEENS5_IJS1P_SX_SY_NST_IJLi5ELi6ELi7EEEENST_IJLi8ELi9ELi10EEEEEEENST_IJLi5ELi6ELi7ELi8ELi9ELi10EEEElEEEEES36_NS_31BlockToCTileMap_M00_N00_M01_N01ILi128ELi128ES1Y_Lb0EEENS1_30ComputePtrOffsetOfStridedBatchILi1ELi1ELi1EvEELb0ELb1EEEvPKT0_S3E_T1_PT2_T3_T4_T5_iT6_T7_T8_T9_T10_T11_.kd
    .uniform_work_group_size: 1
    .uses_dynamic_stack: false
    .vgpr_count:     189
    .vgpr_spill_count: 0
    .wavefront_size: 32
    .workgroup_processor_mode: 1
  - .args:
      - .actual_access:  read_only
        .address_space:  global
        .offset:         0
        .size:           8
        .value_kind:     global_buffer
      - .actual_access:  read_only
        .address_space:  global
        .offset:         8
        .size:           8
        .value_kind:     global_buffer
      - .address_space:  global
        .offset:         16
        .size:           8
        .value_kind:     global_buffer
      - .actual_access:  write_only
        .address_space:  global
        .offset:         24
        .size:           8
        .value_kind:     global_buffer
      - .offset:         32
        .size:           1
        .value_kind:     by_value
      - .offset:         33
        .size:           1
        .value_kind:     by_value
      - .offset:         34
        .size:           1
        .value_kind:     by_value
      - .offset:         36
        .size:           4
        .value_kind:     by_value
      - .offset:         40
        .size:           320
        .value_kind:     by_value
      - .offset:         360
        .size:           96
        .value_kind:     by_value
      - .offset:         456
        .size:           80
        .value_kind:     by_value
      - .offset:         536
        .size:           80
        .value_kind:     by_value
      - .offset:         616
        .size:           112
        .value_kind:     by_value
      - .offset:         728
        .size:           40
        .value_kind:     by_value
      - .offset:         768
        .size:           4
        .value_kind:     hidden_block_count_x
      - .offset:         772
        .size:           4
        .value_kind:     hidden_block_count_y
      - .offset:         776
        .size:           4
        .value_kind:     hidden_block_count_z
      - .offset:         780
        .size:           2
        .value_kind:     hidden_group_size_x
      - .offset:         782
        .size:           2
        .value_kind:     hidden_group_size_y
      - .offset:         784
        .size:           2
        .value_kind:     hidden_group_size_z
      - .offset:         786
        .size:           2
        .value_kind:     hidden_remainder_x
      - .offset:         788
        .size:           2
        .value_kind:     hidden_remainder_y
      - .offset:         790
        .size:           2
        .value_kind:     hidden_remainder_z
      - .offset:         808
        .size:           8
        .value_kind:     hidden_global_offset_x
      - .offset:         816
        .size:           8
        .value_kind:     hidden_global_offset_y
      - .offset:         824
        .size:           8
        .value_kind:     hidden_global_offset_z
      - .offset:         832
        .size:           2
        .value_kind:     hidden_grid_dims
    .group_segment_fixed_size: 32768
    .kernarg_segment_align: 8
    .kernarg_segment_size: 1024
    .language:       OpenCL C
    .language_version:
      - 2
      - 0
    .max_flat_workgroup_size: 256
    .name:           _ZN2ck16tensor_operation6device12_GLOBAL__N_137kernel_grouped_conv_fwd_dl_multiple_dINS_32GridwiseGemmDlMultipleD_km_kn_mnILi256EaiNS_5TupleIJaEEEaNS0_12element_wise11PassThroughES8_NS7_7AddReluELNS_25InMemoryDataOperationEnumE0ENS_16TensorDescriptorINS5_IJNS_5EmbedINS5_IJiiiiiEEESD_Lb0EEENS_11PassThroughIiEENS_3PadIiiiLb0EEESI_SI_SG_SG_NSC_INS5_IJiiEEESJ_Lb0EEESK_SK_SG_NS_23Merge_v2_magic_divisionINS5_IJiiiiEEEEESN_NS_8RightPadIiiLb0EEESP_NS_7UnMergeISJ_Lb0EEESG_EEENS5_IJNS_8SequenceIJLi0EEEENST_IJLi1EEEENST_IJLi2EEEENST_IJLi3EEEENST_IJLi4EEEENST_IJLi5EEEENST_IJLi6EEEENST_IJLi7EEEENST_IJLi8EEEENST_IJLi9EEEENST_IJLi10EEEENST_IJLi11ELi13ELi15ELi17EEEENST_IJLi12ELi14ELi16ELi18EEEENST_IJLi19EEEENST_IJLi20EEEENST_IJLi22EEEENST_IJLi21EEEEEEENS5_IJNST_IJLi1ELi2ELi3ELi4ELi5EEEES10_S11_S12_S13_S14_NST_IJLi11EEEENST_IJLi12ELi13EEEENST_IJLi14ELi15EEEENST_IJLi16ELi17EEEENST_IJLi18EEEES17_S18_S1A_S19_NST_IJLi23ELi24EEEENST_IJLi25EEEEEEENST_IJLi23ELi25ELi24EEEElEENSB_INS5_IJSR_SP_SP_SR_SG_EEENS5_IJSU_SV_SW_SY_SX_EEENS5_IJNST_IJLi1ELi2EEEESX_SY_NST_IJLi5ELi6EEEES11_EEENST_IJLi5ELi7ELi6EEEElEENSB_INS5_IJSK_SP_SP_EEENS5_IJSU_SV_SW_EEENS5_IJS1P_SX_SY_EEENST_IJLi3ELi4EEEElEELi128ELi128ELi16ELi4ELi4ELi4ELi1ENST_IJLi8ELi2EEEES1Z_NST_IJLi8ELi1ELi1ELi4EEEENST_IJLi2ELi1ELi128ELi1EEEENST_IJLi1ELi2ELi0ELi3EEEES22_NST_IJLi4ELi1ELi1ELi4EEEES22_NST_IJLi1ELi1ELi1ELi4EEEES20_S21_S22_S22_S23_S22_S24_NST_IJLi0ELi1ELi2ELi3ELi4ELi5EEEELi5ELi4EEEaNS5_IJPKaEEEaS8_S8_S9_NSB_INS5_IJSE_SG_SI_SI_SI_SG_SG_SK_SK_SK_SG_SN_SN_SP_SP_SR_SG_SG_NSQ_INS5_IJiNS_17integral_constantIiLi128EEEEEELb0EEENSF_INS2A_IiLi4EEEEEEEENS5_IJSU_SV_SW_SX_SY_SZ_S10_S11_S12_S13_S14_S15_S16_S17_S18_S19_S1A_NST_IJLi23EEEES1J_NST_IJLi24EEEEEEENS5_IJS1C_S10_S11_S12_S13_S14_S1D_S1E_S1F_S1G_S1H_S17_S18_S1A_S19_S1I_S1J_NST_IJLi26EEEENST_IJLi27ELi28EEEENST_IJLi29EEEEEEENST_IJLi26ELi27ELi28ELi29EEEElEENSB_INS5_IJSR_SP_SP_SR_SG_SG_S2D_S2F_EEENS5_IJSU_SV_SW_SY_SX_SZ_S11_S10_EEENS5_IJS1P_SX_SY_S1Q_S11_S12_NST_IJLi9ELi10EEEES1D_EEENST_IJLi8ELi9ELi10ELi11EEEElEENS5_IJNSB_INS5_IJSK_SP_SP_NSQ_INS5_IJiNS2A_IiLi2EEENS2A_IiLi64EEEEEELb0EEES2Z_EEENS5_IJSU_SV_SW_SX_SY_EEENS5_IJS1P_SX_SY_NST_IJLi5ELi6ELi7EEEENST_IJLi8ELi9ELi10EEEEEEENST_IJLi5ELi6ELi7ELi8ELi9ELi10EEEElEEEEES36_NS_31BlockToCTileMap_M00_N00_M01_N01ILi128ELi128ES1Y_Lb0EEENS1_30ComputePtrOffsetOfStridedBatchILi1ELi1ELi1EvEELb0ELb0EEEvPKT0_S3E_T1_PT2_T3_T4_T5_iT6_T7_T8_T9_T10_T11_
    .private_segment_fixed_size: 0
    .sgpr_count:     76
    .sgpr_spill_count: 0
    .symbol:         _ZN2ck16tensor_operation6device12_GLOBAL__N_137kernel_grouped_conv_fwd_dl_multiple_dINS_32GridwiseGemmDlMultipleD_km_kn_mnILi256EaiNS_5TupleIJaEEEaNS0_12element_wise11PassThroughES8_NS7_7AddReluELNS_25InMemoryDataOperationEnumE0ENS_16TensorDescriptorINS5_IJNS_5EmbedINS5_IJiiiiiEEESD_Lb0EEENS_11PassThroughIiEENS_3PadIiiiLb0EEESI_SI_SG_SG_NSC_INS5_IJiiEEESJ_Lb0EEESK_SK_SG_NS_23Merge_v2_magic_divisionINS5_IJiiiiEEEEESN_NS_8RightPadIiiLb0EEESP_NS_7UnMergeISJ_Lb0EEESG_EEENS5_IJNS_8SequenceIJLi0EEEENST_IJLi1EEEENST_IJLi2EEEENST_IJLi3EEEENST_IJLi4EEEENST_IJLi5EEEENST_IJLi6EEEENST_IJLi7EEEENST_IJLi8EEEENST_IJLi9EEEENST_IJLi10EEEENST_IJLi11ELi13ELi15ELi17EEEENST_IJLi12ELi14ELi16ELi18EEEENST_IJLi19EEEENST_IJLi20EEEENST_IJLi22EEEENST_IJLi21EEEEEEENS5_IJNST_IJLi1ELi2ELi3ELi4ELi5EEEES10_S11_S12_S13_S14_NST_IJLi11EEEENST_IJLi12ELi13EEEENST_IJLi14ELi15EEEENST_IJLi16ELi17EEEENST_IJLi18EEEES17_S18_S1A_S19_NST_IJLi23ELi24EEEENST_IJLi25EEEEEEENST_IJLi23ELi25ELi24EEEElEENSB_INS5_IJSR_SP_SP_SR_SG_EEENS5_IJSU_SV_SW_SY_SX_EEENS5_IJNST_IJLi1ELi2EEEESX_SY_NST_IJLi5ELi6EEEES11_EEENST_IJLi5ELi7ELi6EEEElEENSB_INS5_IJSK_SP_SP_EEENS5_IJSU_SV_SW_EEENS5_IJS1P_SX_SY_EEENST_IJLi3ELi4EEEElEELi128ELi128ELi16ELi4ELi4ELi4ELi1ENST_IJLi8ELi2EEEES1Z_NST_IJLi8ELi1ELi1ELi4EEEENST_IJLi2ELi1ELi128ELi1EEEENST_IJLi1ELi2ELi0ELi3EEEES22_NST_IJLi4ELi1ELi1ELi4EEEES22_NST_IJLi1ELi1ELi1ELi4EEEES20_S21_S22_S22_S23_S22_S24_NST_IJLi0ELi1ELi2ELi3ELi4ELi5EEEELi5ELi4EEEaNS5_IJPKaEEEaS8_S8_S9_NSB_INS5_IJSE_SG_SI_SI_SI_SG_SG_SK_SK_SK_SG_SN_SN_SP_SP_SR_SG_SG_NSQ_INS5_IJiNS_17integral_constantIiLi128EEEEEELb0EEENSF_INS2A_IiLi4EEEEEEEENS5_IJSU_SV_SW_SX_SY_SZ_S10_S11_S12_S13_S14_S15_S16_S17_S18_S19_S1A_NST_IJLi23EEEES1J_NST_IJLi24EEEEEEENS5_IJS1C_S10_S11_S12_S13_S14_S1D_S1E_S1F_S1G_S1H_S17_S18_S1A_S19_S1I_S1J_NST_IJLi26EEEENST_IJLi27ELi28EEEENST_IJLi29EEEEEEENST_IJLi26ELi27ELi28ELi29EEEElEENSB_INS5_IJSR_SP_SP_SR_SG_SG_S2D_S2F_EEENS5_IJSU_SV_SW_SY_SX_SZ_S11_S10_EEENS5_IJS1P_SX_SY_S1Q_S11_S12_NST_IJLi9ELi10EEEES1D_EEENST_IJLi8ELi9ELi10ELi11EEEElEENS5_IJNSB_INS5_IJSK_SP_SP_NSQ_INS5_IJiNS2A_IiLi2EEENS2A_IiLi64EEEEEELb0EEES2Z_EEENS5_IJSU_SV_SW_SX_SY_EEENS5_IJS1P_SX_SY_NST_IJLi5ELi6ELi7EEEENST_IJLi8ELi9ELi10EEEEEEENST_IJLi5ELi6ELi7ELi8ELi9ELi10EEEElEEEEES36_NS_31BlockToCTileMap_M00_N00_M01_N01ILi128ELi128ES1Y_Lb0EEENS1_30ComputePtrOffsetOfStridedBatchILi1ELi1ELi1EvEELb0ELb0EEEvPKT0_S3E_T1_PT2_T3_T4_T5_iT6_T7_T8_T9_T10_T11_.kd
    .uniform_work_group_size: 1
    .uses_dynamic_stack: false
    .vgpr_count:     137
    .vgpr_spill_count: 0
    .wavefront_size: 32
    .workgroup_processor_mode: 1
amdhsa.target:   amdgcn-amd-amdhsa--gfx1201
amdhsa.version:
  - 1
  - 2
...

	.end_amdgpu_metadata
